;; amdgpu-corpus repo=ROCm/rocFFT kind=compiled arch=gfx906 opt=O3
	.text
	.amdgcn_target "amdgcn-amd-amdhsa--gfx906"
	.amdhsa_code_object_version 6
	.protected	fft_rtc_back_len1440_factors_10_16_3_3_wgs_90_tpt_90_halfLds_sp_ip_CI_sbrr_dirReg ; -- Begin function fft_rtc_back_len1440_factors_10_16_3_3_wgs_90_tpt_90_halfLds_sp_ip_CI_sbrr_dirReg
	.globl	fft_rtc_back_len1440_factors_10_16_3_3_wgs_90_tpt_90_halfLds_sp_ip_CI_sbrr_dirReg
	.p2align	8
	.type	fft_rtc_back_len1440_factors_10_16_3_3_wgs_90_tpt_90_halfLds_sp_ip_CI_sbrr_dirReg,@function
fft_rtc_back_len1440_factors_10_16_3_3_wgs_90_tpt_90_halfLds_sp_ip_CI_sbrr_dirReg: ; @fft_rtc_back_len1440_factors_10_16_3_3_wgs_90_tpt_90_halfLds_sp_ip_CI_sbrr_dirReg
; %bb.0:
	s_load_dwordx2 s[2:3], s[4:5], 0x18
	s_load_dwordx4 s[8:11], s[4:5], 0x0
	s_load_dwordx2 s[14:15], s[4:5], 0x50
	v_mul_u32_u24_e32 v1, 0x2d9, v0
	v_add_u32_sdwa v5, s6, v1 dst_sel:DWORD dst_unused:UNUSED_PAD src0_sel:DWORD src1_sel:WORD_1
	s_waitcnt lgkmcnt(0)
	s_load_dwordx2 s[12:13], s[2:3], 0x0
	v_cmp_lt_u64_e64 s[0:1], s[10:11], 2
	v_mov_b32_e32 v3, 0
	v_mov_b32_e32 v1, 0
	;; [unrolled: 1-line block ×3, first 2 shown]
	s_and_b64 vcc, exec, s[0:1]
	v_mov_b32_e32 v2, 0
	s_cbranch_vccnz .LBB0_8
; %bb.1:
	s_load_dwordx2 s[0:1], s[4:5], 0x10
	s_add_u32 s6, s2, 8
	s_addc_u32 s7, s3, 0
	v_mov_b32_e32 v1, 0
	v_mov_b32_e32 v2, 0
	s_waitcnt lgkmcnt(0)
	s_add_u32 s16, s0, 8
	s_addc_u32 s17, s1, 0
	s_mov_b64 s[18:19], 1
.LBB0_2:                                ; =>This Inner Loop Header: Depth=1
	s_load_dwordx2 s[20:21], s[16:17], 0x0
                                        ; implicit-def: $vgpr7_vgpr8
	s_waitcnt lgkmcnt(0)
	v_or_b32_e32 v4, s21, v6
	v_cmp_ne_u64_e32 vcc, 0, v[3:4]
	s_and_saveexec_b64 s[0:1], vcc
	s_xor_b64 s[22:23], exec, s[0:1]
	s_cbranch_execz .LBB0_4
; %bb.3:                                ;   in Loop: Header=BB0_2 Depth=1
	v_cvt_f32_u32_e32 v4, s20
	v_cvt_f32_u32_e32 v7, s21
	s_sub_u32 s0, 0, s20
	s_subb_u32 s1, 0, s21
	v_mac_f32_e32 v4, 0x4f800000, v7
	v_rcp_f32_e32 v4, v4
	v_mul_f32_e32 v4, 0x5f7ffffc, v4
	v_mul_f32_e32 v7, 0x2f800000, v4
	v_trunc_f32_e32 v7, v7
	v_mac_f32_e32 v4, 0xcf800000, v7
	v_cvt_u32_f32_e32 v7, v7
	v_cvt_u32_f32_e32 v4, v4
	v_mul_lo_u32 v8, s0, v7
	v_mul_hi_u32 v9, s0, v4
	v_mul_lo_u32 v11, s1, v4
	v_mul_lo_u32 v10, s0, v4
	v_add_u32_e32 v8, v9, v8
	v_add_u32_e32 v8, v8, v11
	v_mul_hi_u32 v9, v4, v10
	v_mul_lo_u32 v11, v4, v8
	v_mul_hi_u32 v13, v4, v8
	v_mul_hi_u32 v12, v7, v10
	v_mul_lo_u32 v10, v7, v10
	v_mul_hi_u32 v14, v7, v8
	v_add_co_u32_e32 v9, vcc, v9, v11
	v_addc_co_u32_e32 v11, vcc, 0, v13, vcc
	v_mul_lo_u32 v8, v7, v8
	v_add_co_u32_e32 v9, vcc, v9, v10
	v_addc_co_u32_e32 v9, vcc, v11, v12, vcc
	v_addc_co_u32_e32 v10, vcc, 0, v14, vcc
	v_add_co_u32_e32 v8, vcc, v9, v8
	v_addc_co_u32_e32 v9, vcc, 0, v10, vcc
	v_add_co_u32_e32 v4, vcc, v4, v8
	v_addc_co_u32_e32 v7, vcc, v7, v9, vcc
	v_mul_lo_u32 v8, s0, v7
	v_mul_hi_u32 v9, s0, v4
	v_mul_lo_u32 v10, s1, v4
	v_mul_lo_u32 v11, s0, v4
	v_add_u32_e32 v8, v9, v8
	v_add_u32_e32 v8, v8, v10
	v_mul_lo_u32 v12, v4, v8
	v_mul_hi_u32 v13, v4, v11
	v_mul_hi_u32 v14, v4, v8
	;; [unrolled: 1-line block ×3, first 2 shown]
	v_mul_lo_u32 v11, v7, v11
	v_mul_hi_u32 v9, v7, v8
	v_add_co_u32_e32 v12, vcc, v13, v12
	v_addc_co_u32_e32 v13, vcc, 0, v14, vcc
	v_mul_lo_u32 v8, v7, v8
	v_add_co_u32_e32 v11, vcc, v12, v11
	v_addc_co_u32_e32 v10, vcc, v13, v10, vcc
	v_addc_co_u32_e32 v9, vcc, 0, v9, vcc
	v_add_co_u32_e32 v8, vcc, v10, v8
	v_addc_co_u32_e32 v9, vcc, 0, v9, vcc
	v_add_co_u32_e32 v4, vcc, v4, v8
	v_addc_co_u32_e32 v9, vcc, v7, v9, vcc
	v_mad_u64_u32 v[7:8], s[0:1], v5, v9, 0
	v_mul_hi_u32 v10, v5, v4
	v_add_co_u32_e32 v11, vcc, v10, v7
	v_addc_co_u32_e32 v12, vcc, 0, v8, vcc
	v_mad_u64_u32 v[7:8], s[0:1], v6, v4, 0
	v_mad_u64_u32 v[9:10], s[0:1], v6, v9, 0
	v_add_co_u32_e32 v4, vcc, v11, v7
	v_addc_co_u32_e32 v4, vcc, v12, v8, vcc
	v_addc_co_u32_e32 v7, vcc, 0, v10, vcc
	v_add_co_u32_e32 v4, vcc, v4, v9
	v_addc_co_u32_e32 v9, vcc, 0, v7, vcc
	v_mul_lo_u32 v10, s21, v4
	v_mul_lo_u32 v11, s20, v9
	v_mad_u64_u32 v[7:8], s[0:1], s20, v4, 0
	v_add3_u32 v8, v8, v11, v10
	v_sub_u32_e32 v10, v6, v8
	v_mov_b32_e32 v11, s21
	v_sub_co_u32_e32 v7, vcc, v5, v7
	v_subb_co_u32_e64 v10, s[0:1], v10, v11, vcc
	v_subrev_co_u32_e64 v11, s[0:1], s20, v7
	v_subbrev_co_u32_e64 v10, s[0:1], 0, v10, s[0:1]
	v_cmp_le_u32_e64 s[0:1], s21, v10
	v_cndmask_b32_e64 v12, 0, -1, s[0:1]
	v_cmp_le_u32_e64 s[0:1], s20, v11
	v_cndmask_b32_e64 v11, 0, -1, s[0:1]
	v_cmp_eq_u32_e64 s[0:1], s21, v10
	v_cndmask_b32_e64 v10, v12, v11, s[0:1]
	v_add_co_u32_e64 v11, s[0:1], 2, v4
	v_addc_co_u32_e64 v12, s[0:1], 0, v9, s[0:1]
	v_add_co_u32_e64 v13, s[0:1], 1, v4
	v_addc_co_u32_e64 v14, s[0:1], 0, v9, s[0:1]
	v_subb_co_u32_e32 v8, vcc, v6, v8, vcc
	v_cmp_ne_u32_e64 s[0:1], 0, v10
	v_cmp_le_u32_e32 vcc, s21, v8
	v_cndmask_b32_e64 v10, v14, v12, s[0:1]
	v_cndmask_b32_e64 v12, 0, -1, vcc
	v_cmp_le_u32_e32 vcc, s20, v7
	v_cndmask_b32_e64 v7, 0, -1, vcc
	v_cmp_eq_u32_e32 vcc, s21, v8
	v_cndmask_b32_e32 v7, v12, v7, vcc
	v_cmp_ne_u32_e32 vcc, 0, v7
	v_cndmask_b32_e64 v7, v13, v11, s[0:1]
	v_cndmask_b32_e32 v8, v9, v10, vcc
	v_cndmask_b32_e32 v7, v4, v7, vcc
.LBB0_4:                                ;   in Loop: Header=BB0_2 Depth=1
	s_andn2_saveexec_b64 s[0:1], s[22:23]
	s_cbranch_execz .LBB0_6
; %bb.5:                                ;   in Loop: Header=BB0_2 Depth=1
	v_cvt_f32_u32_e32 v4, s20
	s_sub_i32 s22, 0, s20
	v_rcp_iflag_f32_e32 v4, v4
	v_mul_f32_e32 v4, 0x4f7ffffe, v4
	v_cvt_u32_f32_e32 v4, v4
	v_mul_lo_u32 v7, s22, v4
	v_mul_hi_u32 v7, v4, v7
	v_add_u32_e32 v4, v4, v7
	v_mul_hi_u32 v4, v5, v4
	v_mul_lo_u32 v7, v4, s20
	v_add_u32_e32 v8, 1, v4
	v_sub_u32_e32 v7, v5, v7
	v_subrev_u32_e32 v9, s20, v7
	v_cmp_le_u32_e32 vcc, s20, v7
	v_cndmask_b32_e32 v7, v7, v9, vcc
	v_cndmask_b32_e32 v4, v4, v8, vcc
	v_add_u32_e32 v8, 1, v4
	v_cmp_le_u32_e32 vcc, s20, v7
	v_cndmask_b32_e32 v7, v4, v8, vcc
	v_mov_b32_e32 v8, v3
.LBB0_6:                                ;   in Loop: Header=BB0_2 Depth=1
	s_or_b64 exec, exec, s[0:1]
	v_mul_lo_u32 v4, v8, s20
	v_mul_lo_u32 v11, v7, s21
	v_mad_u64_u32 v[9:10], s[0:1], v7, s20, 0
	s_load_dwordx2 s[0:1], s[6:7], 0x0
	s_add_u32 s18, s18, 1
	v_add3_u32 v4, v10, v11, v4
	v_sub_co_u32_e32 v5, vcc, v5, v9
	v_subb_co_u32_e32 v4, vcc, v6, v4, vcc
	s_waitcnt lgkmcnt(0)
	v_mul_lo_u32 v4, s0, v4
	v_mul_lo_u32 v6, s1, v5
	v_mad_u64_u32 v[1:2], s[0:1], s0, v5, v[1:2]
	s_addc_u32 s19, s19, 0
	s_add_u32 s6, s6, 8
	v_add3_u32 v2, v6, v2, v4
	v_mov_b32_e32 v4, s10
	v_mov_b32_e32 v5, s11
	s_addc_u32 s7, s7, 0
	v_cmp_ge_u64_e32 vcc, s[18:19], v[4:5]
	s_add_u32 s16, s16, 8
	s_addc_u32 s17, s17, 0
	s_cbranch_vccnz .LBB0_9
; %bb.7:                                ;   in Loop: Header=BB0_2 Depth=1
	v_mov_b32_e32 v5, v7
	v_mov_b32_e32 v6, v8
	s_branch .LBB0_2
.LBB0_8:
	v_mov_b32_e32 v8, v6
	v_mov_b32_e32 v7, v5
.LBB0_9:
	s_lshl_b64 s[0:1], s[10:11], 3
	s_add_u32 s0, s2, s0
	s_addc_u32 s1, s3, s1
	s_load_dwordx2 s[2:3], s[0:1], 0x0
	s_load_dwordx2 s[6:7], s[4:5], 0x20
                                        ; implicit-def: $vgpr9
                                        ; implicit-def: $vgpr15
                                        ; implicit-def: $vgpr11
                                        ; implicit-def: $vgpr17
                                        ; implicit-def: $vgpr13
                                        ; implicit-def: $vgpr25
                                        ; implicit-def: $vgpr19
                                        ; implicit-def: $vgpr27
                                        ; implicit-def: $vgpr21
                                        ; implicit-def: $vgpr29
                                        ; implicit-def: $vgpr23
                                        ; implicit-def: $vgpr37
                                        ; implicit-def: $vgpr41
                                        ; implicit-def: $vgpr43
                                        ; implicit-def: $vgpr35
                                        ; implicit-def: $vgpr39
                                        ; implicit-def: $vgpr33
	s_waitcnt lgkmcnt(0)
	v_mad_u64_u32 v[1:2], s[0:1], s2, v7, v[1:2]
	v_mul_lo_u32 v3, s2, v8
	v_mul_lo_u32 v4, s3, v7
	s_mov_b32 s0, 0x2d82d83
	v_mul_hi_u32 v5, v0, s0
	v_cmp_gt_u64_e32 vcc, s[6:7], v[7:8]
	v_add3_u32 v2, v4, v2, v3
                                        ; implicit-def: $vgpr7
	v_mul_u32_u24_e32 v3, 0x5a, v5
	v_lshlrev_b64 v[4:5], 3, v[1:2]
	v_sub_u32_e32 v50, v0, v3
                                        ; implicit-def: $vgpr1
                                        ; implicit-def: $vgpr3
	s_and_saveexec_b64 s[2:3], vcc
	s_cbranch_execz .LBB0_13
; %bb.10:
	v_mad_u64_u32 v[0:1], s[0:1], s12, v50, 0
	v_add_u32_e32 v7, 0x90, v50
	v_mov_b32_e32 v6, s15
	v_mad_u64_u32 v[1:2], s[0:1], s13, v50, v[1:2]
	v_mad_u64_u32 v[2:3], s[0:1], s12, v7, 0
	v_add_co_u32_e64 v30, s[0:1], s14, v4
	v_addc_co_u32_e64 v31, s[0:1], v6, v5, s[0:1]
	v_mad_u64_u32 v[6:7], s[0:1], s13, v7, v[3:4]
	v_add_u32_e32 v9, 0x120, v50
	v_mad_u64_u32 v[7:8], s[0:1], s12, v9, 0
	v_lshlrev_b64 v[0:1], 3, v[0:1]
	v_mov_b32_e32 v3, v6
	v_add_co_u32_e64 v10, s[0:1], v30, v0
	v_addc_co_u32_e64 v11, s[0:1], v31, v1, s[0:1]
	v_lshlrev_b64 v[0:1], 3, v[2:3]
	v_mov_b32_e32 v2, v8
	v_mad_u64_u32 v[2:3], s[0:1], s13, v9, v[2:3]
	v_add_u32_e32 v3, 0x1b0, v50
	v_mad_u64_u32 v[12:13], s[0:1], s12, v3, 0
	v_add_co_u32_e64 v14, s[0:1], v30, v0
	v_mov_b32_e32 v8, v2
	v_mov_b32_e32 v2, v13
	v_addc_co_u32_e64 v15, s[0:1], v31, v1, s[0:1]
	v_mad_u64_u32 v[2:3], s[0:1], s13, v3, v[2:3]
	v_lshlrev_b64 v[0:1], 3, v[7:8]
	v_add_u32_e32 v23, 0x2d0, v50
	v_add_co_u32_e64 v16, s[0:1], v30, v0
	v_mov_b32_e32 v13, v2
	v_add_u32_e32 v2, 0x240, v50
	v_addc_co_u32_e64 v17, s[0:1], v31, v1, s[0:1]
	v_lshlrev_b64 v[0:1], 3, v[12:13]
	v_mad_u64_u32 v[12:13], s[0:1], s12, v2, 0
	v_add_co_u32_e64 v18, s[0:1], v30, v0
	v_mov_b32_e32 v0, v13
	v_addc_co_u32_e64 v19, s[0:1], v31, v1, s[0:1]
	v_mad_u64_u32 v[20:21], s[0:1], s13, v2, v[0:1]
	v_mad_u64_u32 v[21:22], s[0:1], s12, v23, 0
	v_mov_b32_e32 v13, v20
	global_load_dwordx2 v[0:1], v[10:11], off
	global_load_dwordx2 v[2:3], v[14:15], off
	;; [unrolled: 1-line block ×4, first 2 shown]
	v_lshlrev_b64 v[10:11], 3, v[12:13]
	v_mov_b32_e32 v12, v22
	v_mad_u64_u32 v[12:13], s[0:1], s13, v23, v[12:13]
	v_add_u32_e32 v15, 0x360, v50
	v_mad_u64_u32 v[13:14], s[0:1], s12, v15, 0
	v_add_co_u32_e64 v18, s[0:1], v30, v10
	v_mov_b32_e32 v22, v12
	v_mov_b32_e32 v12, v14
	v_addc_co_u32_e64 v19, s[0:1], v31, v11, s[0:1]
	v_mad_u64_u32 v[14:15], s[0:1], s13, v15, v[12:13]
	v_add_u32_e32 v17, 0x3f0, v50
	v_mad_u64_u32 v[15:16], s[0:1], s12, v17, 0
	v_lshlrev_b64 v[10:11], 3, v[21:22]
                                        ; implicit-def: $vgpr38
                                        ; implicit-def: $vgpr34
                                        ; implicit-def: $vgpr42
                                        ; implicit-def: $vgpr40
                                        ; implicit-def: $vgpr36
	v_add_co_u32_e64 v20, s[0:1], v30, v10
	v_mov_b32_e32 v12, v16
	v_addc_co_u32_e64 v21, s[0:1], v31, v11, s[0:1]
	v_lshlrev_b64 v[10:11], 3, v[13:14]
	v_mad_u64_u32 v[12:13], s[0:1], s13, v17, v[12:13]
	v_or_b32_e32 v17, 0x480, v50
	v_mad_u64_u32 v[13:14], s[0:1], s12, v17, 0
	v_add_co_u32_e64 v22, s[0:1], v30, v10
	v_mov_b32_e32 v16, v12
	v_addc_co_u32_e64 v23, s[0:1], v31, v11, s[0:1]
	v_lshlrev_b64 v[10:11], 3, v[15:16]
	v_mov_b32_e32 v12, v14
	v_mad_u64_u32 v[14:15], s[0:1], s13, v17, v[12:13]
	v_add_co_u32_e64 v24, s[0:1], v30, v10
	v_add_u32_e32 v12, 0x510, v50
	v_addc_co_u32_e64 v25, s[0:1], v31, v11, s[0:1]
	v_mad_u64_u32 v[26:27], s[0:1], s12, v12, 0
	v_lshlrev_b64 v[10:11], 3, v[13:14]
	v_add_co_u32_e64 v28, s[0:1], v30, v10
	v_mov_b32_e32 v10, v27
	v_addc_co_u32_e64 v29, s[0:1], v31, v11, s[0:1]
	v_mad_u64_u32 v[32:33], s[0:1], s13, v12, v[10:11]
	global_load_dwordx2 v[14:15], v[18:19], off
	global_load_dwordx2 v[10:11], v[20:21], off
	;; [unrolled: 1-line block ×4, first 2 shown]
                                        ; implicit-def: $vgpr22
	v_mov_b32_e32 v27, v32
	v_lshlrev_b64 v[18:19], 3, v[26:27]
                                        ; implicit-def: $vgpr32
                                        ; implicit-def: $vgpr26
	v_add_co_u32_e64 v20, s[0:1], v30, v18
	v_addc_co_u32_e64 v21, s[0:1], v31, v19, s[0:1]
	global_load_dwordx2 v[24:25], v[28:29], off
	global_load_dwordx2 v[18:19], v[20:21], off
	v_cmp_gt_u32_e64 s[0:1], 54, v50
                                        ; implicit-def: $vgpr28
                                        ; implicit-def: $vgpr20
	s_and_saveexec_b64 s[4:5], s[0:1]
	s_cbranch_execz .LBB0_12
; %bb.11:
	v_add_u32_e32 v26, 0x5a, v50
	v_add_u32_e32 v28, 0xea, v50
	v_mad_u64_u32 v[20:21], s[0:1], s12, v26, 0
	v_mad_u64_u32 v[22:23], s[0:1], s12, v28, 0
	v_add_u32_e32 v29, 0x17a, v50
	v_add_u32_e32 v45, 0x32a, v50
	v_mad_u64_u32 v[26:27], s[0:1], s13, v26, v[21:22]
	v_add_u32_e32 v54, 0x56a, v50
	v_mov_b32_e32 v21, v26
	s_waitcnt vmcnt(1)
	v_mad_u64_u32 v[26:27], s[0:1], s13, v28, v[23:24]
	v_mad_u64_u32 v[27:28], s[0:1], s12, v29, 0
	v_lshlrev_b64 v[20:21], 3, v[20:21]
	v_mov_b32_e32 v23, v26
	v_add_co_u32_e64 v32, s[0:1], v30, v20
	v_addc_co_u32_e64 v33, s[0:1], v31, v21, s[0:1]
	v_lshlrev_b64 v[20:21], 3, v[22:23]
	v_mov_b32_e32 v22, v28
	v_mad_u64_u32 v[22:23], s[0:1], s13, v29, v[22:23]
	v_add_u32_e32 v23, 0x20a, v50
	v_mad_u64_u32 v[34:35], s[0:1], s12, v23, 0
	v_add_co_u32_e64 v36, s[0:1], v30, v20
	v_mov_b32_e32 v28, v22
	v_mov_b32_e32 v22, v35
	v_addc_co_u32_e64 v37, s[0:1], v31, v21, s[0:1]
	v_mad_u64_u32 v[22:23], s[0:1], s13, v23, v[22:23]
	v_lshlrev_b64 v[20:21], 3, v[27:28]
	v_add_co_u32_e64 v38, s[0:1], v30, v20
	v_mov_b32_e32 v35, v22
	v_add_u32_e32 v22, 0x29a, v50
	v_addc_co_u32_e64 v39, s[0:1], v31, v21, s[0:1]
	v_lshlrev_b64 v[20:21], 3, v[34:35]
	v_mad_u64_u32 v[34:35], s[0:1], s12, v22, 0
	v_add_co_u32_e64 v40, s[0:1], v30, v20
	v_mov_b32_e32 v20, v35
	v_addc_co_u32_e64 v41, s[0:1], v31, v21, s[0:1]
	v_mad_u64_u32 v[42:43], s[0:1], s13, v22, v[20:21]
	v_mad_u64_u32 v[43:44], s[0:1], s12, v45, 0
	v_mov_b32_e32 v35, v42
	global_load_dwordx2 v[26:27], v[32:33], off
	global_load_dwordx2 v[20:21], v[36:37], off
	;; [unrolled: 1-line block ×4, first 2 shown]
	v_lshlrev_b64 v[32:33], 3, v[34:35]
	v_mov_b32_e32 v34, v44
	v_mad_u64_u32 v[34:35], s[0:1], s13, v45, v[34:35]
	v_add_u32_e32 v37, 0x3ba, v50
	v_mad_u64_u32 v[35:36], s[0:1], s12, v37, 0
	v_add_co_u32_e64 v40, s[0:1], v30, v32
	v_mov_b32_e32 v44, v34
	v_mov_b32_e32 v34, v36
	v_addc_co_u32_e64 v41, s[0:1], v31, v33, s[0:1]
	v_mad_u64_u32 v[36:37], s[0:1], s13, v37, v[34:35]
	v_add_u32_e32 v39, 0x44a, v50
	v_mad_u64_u32 v[37:38], s[0:1], s12, v39, 0
	v_lshlrev_b64 v[32:33], 3, v[43:44]
	v_add_co_u32_e64 v42, s[0:1], v30, v32
	v_mov_b32_e32 v34, v38
	v_addc_co_u32_e64 v43, s[0:1], v31, v33, s[0:1]
	v_lshlrev_b64 v[32:33], 3, v[35:36]
	v_mad_u64_u32 v[34:35], s[0:1], s13, v39, v[34:35]
	v_add_co_u32_e64 v44, s[0:1], v30, v32
	v_mov_b32_e32 v38, v34
	v_add_u32_e32 v34, 0x4da, v50
	v_addc_co_u32_e64 v45, s[0:1], v31, v33, s[0:1]
	v_mad_u64_u32 v[46:47], s[0:1], s12, v34, 0
	v_lshlrev_b64 v[32:33], 3, v[37:38]
	v_add_co_u32_e64 v48, s[0:1], v30, v32
	v_mov_b32_e32 v32, v47
	v_addc_co_u32_e64 v49, s[0:1], v31, v33, s[0:1]
	v_mad_u64_u32 v[51:52], s[0:1], s13, v34, v[32:33]
	v_mad_u64_u32 v[52:53], s[0:1], s12, v54, 0
	global_load_dwordx2 v[36:37], v[40:41], off
	global_load_dwordx2 v[32:33], v[42:43], off
	global_load_dwordx2 v[38:39], v[44:45], off
	global_load_dwordx2 v[34:35], v[48:49], off
	v_mov_b32_e32 v47, v51
	v_mov_b32_e32 v42, v53
	v_mad_u64_u32 v[42:43], s[0:1], s13, v54, v[42:43]
	v_lshlrev_b64 v[40:41], 3, v[46:47]
	v_add_co_u32_e64 v44, s[0:1], v30, v40
	v_mov_b32_e32 v53, v42
	v_addc_co_u32_e64 v45, s[0:1], v31, v41, s[0:1]
	v_lshlrev_b64 v[40:41], 3, v[52:53]
	v_add_co_u32_e64 v30, s[0:1], v30, v40
	v_addc_co_u32_e64 v31, s[0:1], v31, v41, s[0:1]
	global_load_dwordx2 v[42:43], v[44:45], off
	global_load_dwordx2 v[40:41], v[30:31], off
.LBB0_12:
	s_or_b64 exec, exec, s[4:5]
.LBB0_13:
	s_or_b64 exec, exec, s[2:3]
	s_waitcnt vmcnt(5)
	v_sub_f32_e32 v31, v8, v14
	s_waitcnt vmcnt(1)
	v_sub_f32_e32 v44, v24, v16
	v_add_f32_e32 v52, v31, v44
	v_add_f32_e32 v31, v14, v16
	v_fma_f32 v53, -0.5, v31, v0
	v_add_f32_e32 v31, v8, v24
	v_add_f32_e32 v30, v0, v8
	v_fmac_f32_e32 v0, -0.5, v31
	v_sub_f32_e32 v54, v15, v17
	v_mov_b32_e32 v55, v0
	v_sub_f32_e32 v31, v14, v8
	v_sub_f32_e32 v44, v16, v24
	v_fmac_f32_e32 v55, 0x3f737871, v54
	v_sub_f32_e32 v56, v9, v25
	v_fmac_f32_e32 v0, 0xbf737871, v54
	v_add_f32_e32 v31, v31, v44
	v_fmac_f32_e32 v55, 0xbf167918, v56
	v_fmac_f32_e32 v0, 0x3f167918, v56
	v_fmac_f32_e32 v55, 0x3e9e377a, v31
	v_fmac_f32_e32 v0, 0x3e9e377a, v31
	v_sub_f32_e32 v31, v6, v10
	s_waitcnt vmcnt(0)
	v_sub_f32_e32 v44, v18, v12
	v_add_f32_e32 v57, v31, v44
	v_add_f32_e32 v31, v10, v12
	;; [unrolled: 1-line block ×3, first 2 shown]
	v_fma_f32 v44, -0.5, v31, v2
	v_add_f32_e32 v31, v2, v6
	v_fmac_f32_e32 v2, -0.5, v45
	v_sub_f32_e32 v45, v10, v6
	v_sub_f32_e32 v46, v12, v18
	v_add_f32_e32 v46, v45, v46
	v_sub_f32_e32 v58, v11, v13
	v_mov_b32_e32 v45, v2
	v_fmac_f32_e32 v45, 0x3f737871, v58
	v_sub_f32_e32 v59, v7, v19
	v_fmac_f32_e32 v2, 0xbf737871, v58
	v_sub_f32_e32 v62, v6, v18
	v_add_f32_e32 v6, v30, v14
	v_fmac_f32_e32 v45, 0xbf167918, v59
	v_fmac_f32_e32 v2, 0x3f167918, v59
	v_add_f32_e32 v6, v6, v16
	v_fmac_f32_e32 v45, 0x3e9e377a, v46
	v_fmac_f32_e32 v2, 0x3e9e377a, v46
	v_sub_f32_e32 v46, v7, v11
	v_sub_f32_e32 v47, v19, v13
	v_add_f32_e32 v63, v6, v24
	v_add_f32_e32 v6, v31, v10
	;; [unrolled: 1-line block ×3, first 2 shown]
	v_sub_f32_e32 v46, v11, v7
	v_sub_f32_e32 v47, v13, v19
	v_add_f32_e32 v6, v6, v12
	v_add_f32_e32 v48, v46, v47
	v_add_f32_e32 v46, v7, v19
	v_add_f32_e32 v18, v6, v18
	v_add_f32_e32 v6, v11, v13
	v_fma_f32 v46, -0.5, v46, v3
	v_fma_f32 v6, -0.5, v6, v3
	v_sub_f32_e32 v61, v10, v12
	v_mov_b32_e32 v47, v46
	v_mov_b32_e32 v12, v6
	v_fmac_f32_e32 v47, 0xbf737871, v61
	v_fmac_f32_e32 v46, 0x3f737871, v61
	v_mov_b32_e32 v10, v44
	v_fmac_f32_e32 v12, 0x3f737871, v62
	v_fmac_f32_e32 v47, 0x3f167918, v62
	;; [unrolled: 1-line block ×3, first 2 shown]
	v_mov_b32_e32 v64, v53
	v_fmac_f32_e32 v10, 0xbf737871, v59
	v_fmac_f32_e32 v12, 0x3f167918, v61
	;; [unrolled: 1-line block ×13, first 2 shown]
	v_mul_f32_e32 v65, 0xbf167918, v12
	v_mul_f32_e32 v66, 0xbf737871, v47
	;; [unrolled: 1-line block ×3, first 2 shown]
	v_fmac_f32_e32 v53, 0x3f167918, v54
	v_fmac_f32_e32 v44, 0x3f167918, v58
	;; [unrolled: 1-line block ×7, first 2 shown]
	v_mul_u32_u24_e32 v51, 10, v50
	v_fmac_f32_e32 v53, 0x3e9e377a, v52
	v_fmac_f32_e32 v44, 0x3e9e377a, v57
	v_mul_f32_e32 v52, 0xbf167918, v6
	v_add_f32_e32 v30, v63, v18
	v_add_f32_e32 v31, v64, v65
	;; [unrolled: 1-line block ×4, first 2 shown]
	v_lshl_add_u32 v51, v51, 2, 0
	v_fmac_f32_e32 v52, 0xbf4f1bbd, v44
	ds_write2_b64 v51, v[30:31], v[48:49] offset1:1
	v_sub_f32_e32 v30, v64, v65
	v_sub_f32_e32 v31, v55, v66
	;; [unrolled: 1-line block ×3, first 2 shown]
	v_add_f32_e32 v48, v53, v52
	ds_write2_b64 v51, v[48:49], v[30:31] offset0:2 offset1:3
	v_sub_f32_e32 v30, v0, v67
	v_sub_f32_e32 v0, v28, v36
	;; [unrolled: 1-line block ×3, first 2 shown]
	v_add_f32_e32 v56, v0, v18
	v_sub_f32_e32 v0, v36, v28
	v_sub_f32_e32 v18, v38, v42
	;; [unrolled: 1-line block ×3, first 2 shown]
	v_add_f32_e32 v57, v0, v18
	v_sub_f32_e32 v0, v22, v32
	v_sub_f32_e32 v18, v40, v34
	ds_write_b64 v51, v[30:31] offset:32
	v_add_f32_e32 v30, v18, v0
	v_add_f32_e32 v0, v34, v32
	v_fma_f32 v0, -0.5, v0, v20
	v_sub_f32_e32 v31, v23, v41
	v_mov_b32_e32 v18, v0
	v_fmac_f32_e32 v18, 0xbf737871, v31
	v_sub_f32_e32 v49, v33, v35
	v_fmac_f32_e32 v0, 0x3f737871, v31
	v_fmac_f32_e32 v18, 0xbf167918, v49
	;; [unrolled: 1-line block ×5, first 2 shown]
	v_sub_f32_e32 v30, v32, v22
	v_sub_f32_e32 v48, v34, v40
	v_add_f32_e32 v30, v48, v30
	v_add_f32_e32 v48, v22, v40
	v_fma_f32 v52, -0.5, v48, v20
	v_mov_b32_e32 v48, v52
	v_fmac_f32_e32 v48, 0x3f737871, v49
	v_fmac_f32_e32 v52, 0xbf737871, v49
	;; [unrolled: 1-line block ×6, first 2 shown]
	v_sub_f32_e32 v30, v23, v33
	v_sub_f32_e32 v31, v41, v35
	v_add_f32_e32 v30, v31, v30
	v_add_f32_e32 v31, v35, v33
	v_fma_f32 v53, -0.5, v31, v21
	v_sub_f32_e32 v31, v22, v40
	v_mov_b32_e32 v49, v53
	v_fmac_f32_e32 v49, 0x3f737871, v31
	v_sub_f32_e32 v58, v32, v34
	v_fmac_f32_e32 v53, 0xbf737871, v31
	v_fmac_f32_e32 v49, 0x3f167918, v58
	v_fmac_f32_e32 v53, 0xbf167918, v58
	v_fmac_f32_e32 v49, 0x3e9e377a, v30
	v_fmac_f32_e32 v53, 0x3e9e377a, v30
	v_sub_f32_e32 v30, v33, v23
	v_sub_f32_e32 v54, v35, v41
	v_add_f32_e32 v30, v54, v30
	v_add_f32_e32 v54, v23, v41
	v_fma_f32 v54, -0.5, v54, v21
	v_mov_b32_e32 v55, v54
	v_fmac_f32_e32 v55, 0xbf737871, v58
	v_fmac_f32_e32 v54, 0x3f737871, v58
	;; [unrolled: 1-line block ×6, first 2 shown]
	v_add_f32_e32 v30, v36, v38
	v_fma_f32 v62, -0.5, v30, v26
	v_add_f32_e32 v30, v28, v42
	v_fma_f32 v63, -0.5, v30, v26
	v_sub_f32_e32 v64, v29, v43
	v_mov_b32_e32 v58, v62
	v_sub_f32_e32 v65, v37, v39
	v_mov_b32_e32 v59, v63
	v_fmac_f32_e32 v58, 0xbf737871, v64
	v_fmac_f32_e32 v59, 0x3f737871, v65
	;; [unrolled: 1-line block ×4, first 2 shown]
	v_mul_f32_e32 v60, 0xbf167918, v49
	v_mul_f32_e32 v61, 0xbf737871, v55
	v_fmac_f32_e32 v58, 0x3e9e377a, v56
	v_fmac_f32_e32 v59, 0x3e9e377a, v57
	v_fmac_f32_e32 v60, 0x3f4f1bbd, v18
	v_fmac_f32_e32 v61, 0x3e9e377a, v48
	s_mov_b32 s5, 0x3f737871
	s_mov_b32 s4, 0x3f167918
	v_sub_f32_e32 v30, v58, v60
	v_sub_f32_e32 v31, v59, v61
	v_cmp_gt_u32_e64 s[0:1], 54, v50
	s_and_saveexec_b64 s[2:3], s[0:1]
	s_cbranch_execz .LBB0_15
; %bb.14:
	v_mul_f32_e32 v66, 0x3f737871, v64
	v_mul_f32_e32 v67, 0x3f167918, v65
	;; [unrolled: 1-line block ×3, first 2 shown]
	v_add_f32_e32 v57, v66, v62
	v_mul_f32_e32 v56, 0x3e9e377a, v56
	v_mul_f32_e32 v65, 0x3f737871, v65
	v_add_f32_e32 v57, v67, v57
	v_add_f32_e32 v26, v26, v28
	;; [unrolled: 1-line block ×3, first 2 shown]
	v_mul_f32_e32 v64, 0x3f167918, v64
	v_add_f32_e32 v62, v56, v57
	v_sub_f32_e32 v56, v63, v65
	v_add_f32_e32 v26, v26, v36
	v_add_f32_e32 v20, v20, v32
	v_add_f32_e32 v56, v64, v56
	v_mul_f32_e32 v65, 0xbf737871, v54
	v_add_f32_e32 v26, v26, v38
	v_add_f32_e32 v20, v34, v20
	v_mul_f32_e32 v66, 0xbf167918, v53
	v_add_f32_e32 v64, v68, v56
	v_fmac_f32_e32 v65, 0xbe9e377a, v52
	v_add_f32_e32 v26, v42, v26
	v_add_f32_e32 v20, v40, v20
	v_fmac_f32_e32 v66, 0xbf4f1bbd, v0
	v_sub_f32_e32 v56, v64, v65
	v_sub_f32_e32 v63, v26, v20
	v_add_f32_e32 v65, v64, v65
	v_add_f32_e32 v64, v59, v61
	;; [unrolled: 1-line block ×4, first 2 shown]
	v_add_u32_e32 v20, 0xe10, v51
	v_sub_f32_e32 v57, v62, v66
	v_add_f32_e32 v62, v62, v66
	ds_write2_b64 v20, v[58:59], v[64:65] offset1:1
	v_add_u32_e32 v20, 0xe20, v51
	ds_write2_b64 v20, v[62:63], v[30:31] offset1:1
	ds_write_b64 v51, v[56:57] offset:3632
.LBB0_15:
	s_or_b64 exec, exec, s[2:3]
	v_add_f32_e32 v22, v15, v17
	v_fma_f32 v22, -0.5, v22, v1
	v_sub_f32_e32 v8, v8, v24
	v_mov_b32_e32 v24, v22
	v_fmac_f32_e32 v24, 0x3f737871, v8
	v_sub_f32_e32 v14, v14, v16
	v_sub_f32_e32 v16, v9, v15
	;; [unrolled: 1-line block ×3, first 2 shown]
	v_fmac_f32_e32 v22, 0xbf737871, v8
	v_fmac_f32_e32 v24, 0x3f167918, v14
	v_add_f32_e32 v16, v16, v26
	v_fmac_f32_e32 v22, 0xbf167918, v14
	v_fmac_f32_e32 v24, 0x3e9e377a, v16
	v_fmac_f32_e32 v22, 0x3e9e377a, v16
	v_add_f32_e32 v16, v9, v25
	v_add_f32_e32 v20, v1, v9
	v_fmac_f32_e32 v1, -0.5, v16
	v_mov_b32_e32 v16, v1
	v_add_f32_e32 v3, v3, v7
	v_add_f32_e32 v20, v20, v15
	v_fmac_f32_e32 v16, 0xbf737871, v14
	v_sub_f32_e32 v9, v15, v9
	v_sub_f32_e32 v15, v17, v25
	v_fmac_f32_e32 v1, 0x3f737871, v14
	v_add_f32_e32 v3, v3, v11
	v_add_f32_e32 v20, v20, v17
	v_fmac_f32_e32 v16, 0x3f167918, v8
	v_add_f32_e32 v9, v9, v15
	v_fmac_f32_e32 v1, 0xbf167918, v8
	v_add_f32_e32 v3, v3, v13
	v_mul_f32_e32 v6, 0x3f4f1bbd, v6
	v_add_f32_e32 v20, v20, v25
	v_fmac_f32_e32 v16, 0x3e9e377a, v9
	v_fmac_f32_e32 v1, 0x3e9e377a, v9
	v_add_f32_e32 v3, v3, v19
	v_mul_f32_e32 v9, 0x3e9e377a, v46
	v_fma_f32 v6, v44, s4, -v6
	v_add_f32_e32 v58, v20, v3
	v_mul_f32_e32 v8, 0x3f737871, v45
	v_fma_f32 v2, v2, s5, -v9
	v_add_f32_e32 v62, v22, v6
	v_sub_f32_e32 v63, v20, v3
	v_sub_f32_e32 v67, v22, v6
	;; [unrolled: 1-line block ×4, first 2 shown]
	s_movk_i32 s2, 0xffdc
	v_mul_f32_e32 v7, 0x3f4f1bbd, v12
	v_fmac_f32_e32 v8, 0x3e9e377a, v47
	v_add_f32_e32 v61, v1, v2
	v_sub_f32_e32 v66, v1, v2
	v_add_f32_e32 v1, v37, v39
	v_add_f32_e32 v56, v3, v6
	;; [unrolled: 1-line block ×3, first 2 shown]
	v_mad_i32_i24 v40, v50, s2, v51
	v_fmac_f32_e32 v7, 0x3f167918, v10
	v_add_f32_e32 v60, v16, v8
	v_sub_f32_e32 v65, v16, v8
	v_fma_f32 v2, -0.5, v1, v27
	v_sub_f32_e32 v14, v28, v42
	v_sub_f32_e32 v16, v36, v38
	v_fma_f32 v15, -0.5, v3, v27
	v_mul_f32_e32 v17, 0x3f167918, v18
	v_mul_f32_e32 v42, 0x3e9e377a, v55
	v_add_u32_e32 v20, 0x200, v40
	v_add_u32_e32 v26, 0x400, v40
	;; [unrolled: 1-line block ×7, first 2 shown]
	v_add_f32_e32 v59, v24, v7
	v_sub_f32_e32 v64, v24, v7
	v_mov_b32_e32 v1, v2
	v_mov_b32_e32 v3, v15
	v_fmac_f32_e32 v17, 0x3f4f1bbd, v49
	v_fmac_f32_e32 v42, 0x3f737871, v48
	s_waitcnt lgkmcnt(0)
	s_barrier
	ds_read2_b32 v[10:11], v40 offset1:90
	ds_read2_b32 v[48:49], v20 offset0:52 offset1:142
	ds_read2_b32 v[46:47], v26 offset0:104 offset1:194
	;; [unrolled: 1-line block ×7, first 2 shown]
	v_fmac_f32_e32 v1, 0x3f737871, v14
	v_fmac_f32_e32 v3, 0xbf737871, v16
	v_sub_f32_e32 v6, v37, v29
	v_sub_f32_e32 v7, v39, v43
	v_fmac_f32_e32 v1, 0x3f167918, v16
	v_fmac_f32_e32 v3, 0x3f167918, v14
	v_add_f32_e32 v57, v6, v7
	v_fmac_f32_e32 v1, 0x3e9e377a, v56
	v_fmac_f32_e32 v3, 0x3e9e377a, v57
	v_sub_f32_e32 v6, v1, v17
	v_sub_f32_e32 v7, v3, v42
	v_add_u32_e32 v36, 0x5a, v50
	s_waitcnt lgkmcnt(0)
	s_barrier
	ds_write2_b64 v51, v[58:59], v[60:61] offset1:1
	ds_write2_b64 v51, v[62:63], v[64:65] offset0:2 offset1:3
	ds_write_b64 v51, v[66:67] offset:32
	s_and_saveexec_b64 s[2:3], s[0:1]
	s_cbranch_execz .LBB0_17
; %bb.16:
	v_mul_f32_e32 v51, 0x3f737871, v14
	v_mul_f32_e32 v55, 0x3f167918, v16
	v_sub_f32_e32 v2, v2, v51
	v_mul_f32_e32 v56, 0x3e9e377a, v56
	v_mul_f32_e32 v16, 0x3f737871, v16
	v_sub_f32_e32 v2, v2, v55
	v_mul_f32_e32 v14, 0x3f167918, v14
	v_add_f32_e32 v27, v27, v29
	v_add_f32_e32 v29, v56, v2
	;; [unrolled: 1-line block ×3, first 2 shown]
	v_mul_f32_e32 v57, 0x3e9e377a, v57
	v_sub_f32_e32 v2, v2, v14
	v_add_f32_e32 v27, v27, v37
	v_add_f32_e32 v37, v57, v2
	;; [unrolled: 1-line block ×8, first 2 shown]
	v_mul_f32_e32 v3, 0xbe9e377a, v54
	v_mul_f32_e32 v23, 0xbf4f1bbd, v53
	v_add_f32_e32 v27, v43, v27
	v_add_f32_e32 v21, v41, v2
	v_fmac_f32_e32 v3, 0x3f737871, v52
	v_fmac_f32_e32 v23, 0x3f167918, v0
	v_mul_u32_u24_e32 v0, 10, v36
	v_add_f32_e32 v14, v27, v21
	v_add_f32_e32 v2, v37, v3
	v_lshl_add_u32 v0, v0, 2, 0
	v_add_f32_e32 v16, v29, v23
	v_sub_f32_e32 v17, v27, v21
	v_sub_f32_e32 v41, v37, v3
	;; [unrolled: 1-line block ×3, first 2 shown]
	ds_write2_b64 v0, v[14:15], v[1:2] offset1:1
	ds_write2_b64 v0, v[16:17], v[6:7] offset0:2 offset1:3
	ds_write_b64 v0, v[41:42] offset:32
.LBB0_17:
	s_or_b64 exec, exec, s[2:3]
	s_movk_i32 s0, 0xcd
	v_mul_lo_u16_sdwa v0, v50, s0 dst_sel:DWORD dst_unused:UNUSED_PAD src0_sel:BYTE_0 src1_sel:DWORD
	v_lshrrev_b16_e32 v21, 11, v0
	v_mul_lo_u16_e32 v0, 10, v21
	v_sub_u16_e32 v23, v50, v0
	v_mov_b32_e32 v0, 15
	v_mul_u32_u24_sdwa v0, v23, v0 dst_sel:DWORD dst_unused:UNUSED_PAD src0_sel:BYTE_0 src1_sel:DWORD
	v_lshlrev_b32_e32 v14, 3, v0
	s_waitcnt lgkmcnt(0)
	s_barrier
	global_load_dwordx4 v[51:54], v14, s[8:9]
	global_load_dwordx4 v[55:58], v14, s[8:9] offset:16
	global_load_dwordx4 v[59:62], v14, s[8:9] offset:32
	;; [unrolled: 1-line block ×6, first 2 shown]
	global_load_dwordx2 v[41:42], v14, s[8:9] offset:112
	ds_read2_b32 v[14:15], v40 offset1:90
	ds_read2_b32 v[75:76], v20 offset0:52 offset1:142
	ds_read2_b32 v[77:78], v26 offset0:104 offset1:194
	;; [unrolled: 1-line block ×7, first 2 shown]
	v_mul_u32_u24_e32 v21, 0xa0, v21
	v_or_b32_sdwa v21, v21, v23 dst_sel:DWORD dst_unused:UNUSED_PAD src0_sel:DWORD src1_sel:BYTE_0
	s_waitcnt vmcnt(0) lgkmcnt(0)
	s_barrier
	v_cmp_gt_u32_e64 s[0:1], 30, v50
	v_mul_f32_e32 v27, v15, v52
	v_mul_f32_e32 v29, v11, v52
	;; [unrolled: 1-line block ×9, first 2 shown]
	v_fmac_f32_e32 v27, v11, v51
	v_fma_f32 v11, v15, v51, -v29
	v_fma_f32 v29, v75, v53, -v39
	v_mul_f32_e32 v39, v47, v60
	v_fmac_f32_e32 v35, v48, v53
	v_mul_f32_e32 v48, v79, v62
	v_mul_f32_e32 v51, v44, v62
	;; [unrolled: 1-line block ×5, first 2 shown]
	v_fmac_f32_e32 v54, v46, v57
	v_fma_f32 v15, v77, v57, -v56
	v_mul_f32_e32 v46, v33, v66
	v_mul_f32_e32 v56, v24, v66
	v_fmac_f32_e32 v58, v47, v59
	v_fma_f32 v39, v78, v59, -v39
	v_mul_f32_e32 v59, v82, v72
	v_mul_f32_e32 v66, v19, v72
	v_fmac_f32_e32 v43, v49, v55
	v_mul_f32_e32 v49, v16, v3
	v_fma_f32 v52, v76, v55, -v52
	v_mul_f32_e32 v55, v17, v64
	v_mul_f32_e32 v57, v34, v68
	;; [unrolled: 1-line block ×5, first 2 shown]
	v_fmac_f32_e32 v48, v44, v61
	v_fma_f32 v44, v79, v61, -v51
	v_mul_f32_e32 v51, v37, v74
	v_mul_f32_e32 v68, v38, v42
	v_fmac_f32_e32 v53, v45, v0
	v_fma_f32 v0, v80, v0, -v1
	v_fma_f32 v1, v17, v63, -v60
	v_fmac_f32_e32 v46, v24, v65
	v_fma_f32 v24, v33, v65, -v56
	v_fmac_f32_e32 v59, v19, v71
	v_fma_f32 v19, v82, v71, -v66
	v_mul_f32_e32 v61, v12, v74
	v_fmac_f32_e32 v49, v8, v2
	v_fmac_f32_e32 v57, v25, v67
	v_fma_f32 v25, v34, v67, -v62
	v_fmac_f32_e32 v47, v18, v69
	v_fma_f32 v17, v81, v69, -v64
	v_fmac_f32_e32 v51, v12, v73
	v_fmac_f32_e32 v68, v13, v41
	v_sub_f32_e32 v24, v29, v24
	v_sub_f32_e32 v1, v11, v1
	;; [unrolled: 1-line block ×3, first 2 shown]
	v_mul_f32_e32 v42, v13, v42
	v_fmac_f32_e32 v55, v9, v63
	v_fma_f32 v12, v37, v73, -v61
	v_sub_f32_e32 v33, v10, v49
	v_sub_f32_e32 v9, v54, v47
	;; [unrolled: 1-line block ×4, first 2 shown]
	v_fma_f32 v18, v29, 2.0, -v24
	v_sub_f32_e32 v29, v48, v51
	v_fma_f32 v11, v11, 2.0, -v1
	v_fma_f32 v39, v39, 2.0, -v45
	v_sub_f32_e32 v47, v43, v57
	v_sub_f32_e32 v25, v52, v25
	;; [unrolled: 1-line block ×3, first 2 shown]
	v_fma_f32 v13, v38, v41, -v42
	v_fma_f32 v35, v35, 2.0, -v34
	v_sub_f32_e32 v12, v44, v12
	v_fma_f32 v38, v48, 2.0, -v29
	v_sub_f32_e32 v42, v27, v55
	v_fma_f32 v43, v43, 2.0, -v47
	v_fma_f32 v48, v52, 2.0, -v25
	;; [unrolled: 1-line block ×3, first 2 shown]
	v_add_f32_e32 v52, v33, v17
	v_sub_f32_e32 v39, v11, v39
	v_fma_f32 v41, v44, 2.0, -v12
	v_sub_f32_e32 v44, v58, v59
	v_sub_f32_e32 v13, v0, v13
	v_fma_f32 v53, v33, 2.0, -v52
	v_sub_f32_e32 v19, v35, v38
	v_add_f32_e32 v12, v34, v12
	v_sub_f32_e32 v38, v24, v29
	v_fma_f32 v29, v11, 2.0, -v39
	v_add_f32_e32 v11, v42, v45
	v_sub_f32_e32 v51, v43, v51
	v_fma_f32 v27, v27, 2.0, -v42
	v_fma_f32 v46, v58, 2.0, -v44
	;; [unrolled: 1-line block ×4, first 2 shown]
	v_sub_f32_e32 v55, v1, v44
	v_fma_f32 v42, v42, 2.0, -v11
	v_add_f32_e32 v13, v47, v13
	v_mov_b32_e32 v58, v53
	v_mov_b32_e32 v60, v52
	v_sub_f32_e32 v62, v39, v51
	v_fma_f32 v10, v10, 2.0, -v33
	v_sub_f32_e32 v33, v18, v41
	v_fma_f32 v24, v24, 2.0, -v38
	v_fma_f32 v1, v1, 2.0, -v55
	v_sub_f32_e32 v56, v25, v49
	v_fma_f32 v49, v47, 2.0, -v13
	v_mul_f32_e32 v41, 0x3f3504f3, v34
	v_fmac_f32_e32 v58, 0xbf3504f3, v34
	v_fmac_f32_e32 v60, 0x3f3504f3, v12
	v_mov_b32_e32 v34, v42
	v_fma_f32 v63, v39, 2.0, -v62
	v_mov_b32_e32 v39, v11
	v_fma_f32 v37, v54, 2.0, -v9
	v_sub_f32_e32 v54, v27, v46
	v_sub_f32_e32 v0, v48, v0
	v_fma_f32 v25, v25, 2.0, -v56
	v_fmac_f32_e32 v58, 0x3f3504f3, v24
	v_mul_f32_e32 v46, 0x3f3504f3, v38
	v_fmac_f32_e32 v60, 0x3f3504f3, v38
	v_fmac_f32_e32 v34, 0xbf3504f3, v49
	v_mov_b32_e32 v38, v1
	v_fmac_f32_e32 v39, 0x3f3504f3, v13
	v_fma_f32 v48, v48, 2.0, -v0
	v_mul_f32_e32 v44, 0x3f3504f3, v24
	v_fma_f32 v24, v53, 2.0, -v58
	v_fmac_f32_e32 v38, 0xbf3504f3, v25
	v_fmac_f32_e32 v34, 0x3f3504f3, v25
	;; [unrolled: 1-line block ×3, first 2 shown]
	v_sub_f32_e32 v37, v10, v37
	v_fma_f32 v43, v43, 2.0, -v51
	v_sub_f32_e32 v47, v29, v48
	v_fmac_f32_e32 v38, 0xbf3504f3, v49
	v_fma_f32 v48, v42, 2.0, -v34
	v_fma_f32 v51, v11, 2.0, -v39
	v_mov_b32_e32 v11, v24
	v_add_f32_e32 v59, v37, v33
	v_fma_f32 v49, v1, 2.0, -v38
	v_mov_b32_e32 v42, v55
	v_fmac_f32_e32 v11, 0xbf6c835e, v48
	v_fma_f32 v10, v10, 2.0, -v37
	v_fma_f32 v35, v35, 2.0, -v19
	;; [unrolled: 1-line block ×4, first 2 shown]
	v_add_f32_e32 v61, v54, v0
	v_fmac_f32_e32 v42, 0x3f3504f3, v56
	v_fmac_f32_e32 v11, 0x3ec3ef15, v49
	v_sub_f32_e32 v57, v10, v35
	v_sub_f32_e32 v35, v27, v43
	v_fma_f32 v0, v54, 2.0, -v61
	v_fmac_f32_e32 v42, 0xbf3504f3, v13
	v_fma_f32 v13, v24, 2.0, -v11
	v_mov_b32_e32 v24, v37
	v_fma_f32 v10, v10, 2.0, -v57
	v_fma_f32 v27, v27, 2.0, -v35
	v_fmac_f32_e32 v24, 0xbf3504f3, v0
	v_mul_f32_e32 v45, 0x3f3504f3, v12
	v_fma_f32 v12, v52, 2.0, -v60
	v_sub_f32_e32 v1, v10, v27
	v_fmac_f32_e32 v24, 0x3f3504f3, v63
	v_add_f32_e32 v27, v57, v47
	v_fma_f32 v52, v55, 2.0, -v42
	v_mul_f32_e32 v53, 0x3f3504f3, v0
	v_fma_f32 v0, v37, 2.0, -v24
	v_mov_b32_e32 v25, v12
	v_fma_f32 v43, v57, 2.0, -v27
	v_mov_b32_e32 v55, v58
	v_mov_b32_e32 v57, v59
	;; [unrolled: 1-line block ×3, first 2 shown]
	v_fmac_f32_e32 v25, 0xbec3ef15, v51
	v_fmac_f32_e32 v55, 0x3ec3ef15, v34
	;; [unrolled: 1-line block ×4, first 2 shown]
	v_fma_f32 v10, v10, 2.0, -v1
	v_fmac_f32_e32 v25, 0x3f6c835e, v52
	v_fmac_f32_e32 v55, 0x3f6c835e, v38
	v_fmac_f32_e32 v57, 0x3f3504f3, v62
	v_fmac_f32_e32 v37, 0x3ec3ef15, v42
	v_lshl_add_u32 v54, v21, 2, 0
	v_fma_f32 v12, v12, 2.0, -v25
	v_fma_f32 v56, v58, 2.0, -v55
	;; [unrolled: 1-line block ×4, first 2 shown]
	ds_write2_b32 v54, v10, v13 offset1:10
	ds_write2_b32 v54, v0, v12 offset0:20 offset1:30
	ds_write2_b32 v54, v43, v56 offset0:40 offset1:50
	;; [unrolled: 1-line block ×7, first 2 shown]
	v_add_u32_e32 v55, 0xe00, v40
	s_waitcnt lgkmcnt(0)
	s_barrier
	ds_read2_b32 v[12:13], v40 offset1:90
	ds_read2_b32 v[10:11], v26 offset0:104 offset1:224
	ds_read2_b32 v[24:25], v55 offset0:64 offset1:154
	ds_read2_b32 v[26:27], v22 offset0:58 offset1:148
	ds_read2_b32 v[0:1], v20 offset0:52 offset1:142
	ds_read2_b32 v[22:23], v32 offset0:116 offset1:206
	ds_read2_b32 v[20:21], v28 offset0:110 offset1:200
	ds_read_b32 v43, v40 offset:5280
	v_mul_f32_e32 v56, 0x3f3504f3, v63
	v_mul_f32_e32 v28, 0x3f3504f3, v61
	;; [unrolled: 1-line block ×3, first 2 shown]
	s_and_saveexec_b64 s[2:3], s[0:1]
	s_cbranch_execz .LBB0_19
; %bb.18:
	ds_read_b32 v37, v40 offset:1800
	ds_read_b32 v30, v40 offset:3720
	;; [unrolled: 1-line block ×3, first 2 shown]
.LBB0_19:
	s_or_b64 exec, exec, s[2:3]
	v_mul_f32_e32 v3, v8, v3
	v_fma_f32 v2, v16, v2, -v3
	v_sub_f32_e32 v2, v14, v2
	v_sub_f32_e32 v9, v2, v9
	v_fma_f32 v3, v14, 2.0, -v2
	v_fma_f32 v2, v2, 2.0, -v9
	;; [unrolled: 1-line block ×3, first 2 shown]
	v_sub_f32_e32 v15, v2, v44
	v_sub_f32_e32 v8, v3, v8
	v_sub_f32_e32 v15, v15, v41
	v_add_f32_e32 v17, v9, v46
	v_fma_f32 v3, v3, 2.0, -v8
	v_fma_f32 v14, v18, 2.0, -v33
	;; [unrolled: 1-line block ×3, first 2 shown]
	v_sub_f32_e32 v16, v8, v19
	v_sub_f32_e32 v17, v17, v45
	v_sub_f32_e32 v14, v3, v14
	v_fma_f32 v8, v8, 2.0, -v16
	v_fma_f32 v9, v9, 2.0, -v17
	v_mov_b32_e32 v19, v2
	v_mov_b32_e32 v41, v15
	v_fma_f32 v3, v3, 2.0, -v14
	v_fma_f32 v18, v29, 2.0, -v47
	v_fmac_f32_e32 v19, 0xbf6c835e, v49
	v_sub_f32_e32 v29, v8, v56
	v_mov_b32_e32 v33, v9
	v_fmac_f32_e32 v41, 0x3ec3ef15, v38
	v_mov_b32_e32 v38, v17
	v_sub_f32_e32 v18, v3, v18
	v_fmac_f32_e32 v19, 0xbec3ef15, v48
	v_sub_f32_e32 v29, v29, v53
	v_fmac_f32_e32 v33, 0xbec3ef15, v52
	v_add_f32_e32 v32, v16, v32
	v_fmac_f32_e32 v38, 0x3f6c835e, v42
	v_fma_f32 v3, v3, 2.0, -v18
	v_fma_f32 v2, v2, 2.0, -v19
	;; [unrolled: 1-line block ×3, first 2 shown]
	v_fmac_f32_e32 v33, 0xbf6c835e, v51
	v_sub_f32_e32 v35, v14, v35
	v_fmac_f32_e32 v41, 0xbf6c835e, v34
	v_sub_f32_e32 v28, v32, v28
	v_fmac_f32_e32 v38, 0xbec3ef15, v39
	v_fma_f32 v9, v9, 2.0, -v33
	v_fma_f32 v14, v14, 2.0, -v35
	;; [unrolled: 1-line block ×5, first 2 shown]
	s_waitcnt lgkmcnt(0)
	s_barrier
	ds_write2_b32 v54, v3, v2 offset1:10
	ds_write2_b32 v54, v8, v9 offset0:20 offset1:30
	ds_write2_b32 v54, v14, v15 offset0:40 offset1:50
	;; [unrolled: 1-line block ×7, first 2 shown]
	v_add_u32_e32 v2, 0x400, v40
	v_add_u32_e32 v8, 0x800, v40
	s_waitcnt lgkmcnt(0)
	s_barrier
	ds_read2_b32 v[14:15], v40 offset1:90
	ds_read2_b32 v[2:3], v2 offset0:104 offset1:224
	ds_read2_b32 v[16:17], v55 offset0:64 offset1:154
	;; [unrolled: 1-line block ×3, first 2 shown]
	v_add_u32_e32 v8, 0x200, v40
	ds_read2_b32 v[18:19], v8 offset0:52 offset1:142
	v_add_u32_e32 v8, 0x1000, v40
	ds_read2_b32 v[32:33], v8 offset0:116 offset1:206
	;; [unrolled: 2-line block ×3, first 2 shown]
	ds_read_b32 v45, v40 offset:5280
	s_and_saveexec_b64 s[2:3], s[0:1]
	s_cbranch_execz .LBB0_21
; %bb.20:
	ds_read_b32 v38, v40 offset:1800
	ds_read_b32 v6, v40 offset:3720
	;; [unrolled: 1-line block ×3, first 2 shown]
.LBB0_21:
	s_or_b64 exec, exec, s[2:3]
	v_lshlrev_b32_e32 v46, 1, v50
	v_mov_b32_e32 v47, 0
	v_lshlrev_b64 v[8:9], 3, v[46:47]
	v_mov_b32_e32 v39, s9
	v_add_co_u32_e64 v8, s[2:3], s8, v8
	v_addc_co_u32_e64 v9, s[2:3], v39, v9, s[2:3]
	s_movk_i32 s2, 0x46
	v_add_u32_e32 v44, 0xffffffba, v50
	v_cmp_gt_u32_e64 s[2:3], s2, v50
	v_add_u32_e32 v46, 40, v46
	v_cndmask_b32_e64 v78, v44, v36, s[2:3]
	v_mov_b32_e32 v49, v47
	v_lshlrev_b64 v[46:47], 3, v[46:47]
	v_lshlrev_b32_e32 v48, 1, v78
	v_lshlrev_b64 v[48:49], 3, v[48:49]
	v_add_co_u32_e64 v46, s[2:3], s8, v46
	v_addc_co_u32_e64 v47, s[2:3], v39, v47, s[2:3]
	global_load_dwordx4 v[58:61], v[46:47], off offset:1200
	v_add_co_u32_e64 v46, s[2:3], s8, v48
	v_addc_co_u32_e64 v47, s[2:3], v39, v49, s[2:3]
	v_add_u32_e32 v42, 0x10e, v50
	s_mov_b32 s2, 0xcccd
	v_mul_u32_u24_sdwa v39, v42, s2 dst_sel:DWORD dst_unused:UNUSED_PAD src0_sel:WORD_0 src1_sel:DWORD
	v_lshrrev_b32_e32 v79, 23, v39
	v_mul_lo_u16_e32 v39, 0xa0, v79
	v_sub_u16_e32 v80, v42, v39
	v_add_u32_e32 v41, 0x168, v50
	v_lshlrev_b32_e32 v39, 4, v80
	global_load_dwordx4 v[51:54], v[8:9], off offset:1200
	global_load_dwordx4 v[66:69], v39, s[8:9] offset:1200
	v_mul_u32_u24_sdwa v39, v41, s2 dst_sel:DWORD dst_unused:UNUSED_PAD src0_sel:WORD_0 src1_sel:DWORD
	v_lshrrev_b32_e32 v39, 23, v39
	v_mul_lo_u16_e32 v39, 0xa0, v39
	v_sub_u16_e32 v81, v41, v39
	v_lshlrev_b32_e32 v39, 4, v81
	global_load_dwordx4 v[62:65], v[46:47], off offset:1200
	global_load_dwordx4 v[70:73], v39, s[8:9] offset:1200
	v_add_u32_e32 v39, 0x1c2, v50
	v_mul_u32_u24_sdwa v44, v39, s2 dst_sel:DWORD dst_unused:UNUSED_PAD src0_sel:WORD_0 src1_sel:DWORD
	v_lshrrev_b32_e32 v44, 23, v44
	v_mul_lo_u16_e32 v44, 0xa0, v44
	v_sub_u16_e32 v82, v39, v44
	v_lshlrev_b32_e32 v44, 4, v82
	global_load_dwordx4 v[74:77], v44, s[8:9] offset:1200
	s_movk_i32 s2, 0x45
	s_waitcnt vmcnt(0) lgkmcnt(0)
	s_barrier
	v_cmp_lt_u32_e64 s[2:3], s2, v50
	v_mul_f32_e32 v47, v3, v52
	v_mul_f32_e32 v44, v11, v52
	v_fmac_f32_e32 v47, v11, v51
	v_mul_f32_e32 v11, v22, v61
	v_mul_f32_e32 v46, v24, v54
	v_fma_f32 v52, v32, v60, -v11
	v_mul_f32_e32 v11, v20, v67
	v_mul_f32_e32 v49, v16, v54
	v_fma_f32 v55, v3, v51, -v44
	v_fma_f32 v57, v16, v53, -v46
	v_mul_f32_e32 v44, v35, v59
	v_mul_f32_e32 v3, v27, v59
	;; [unrolled: 1-line block ×4, first 2 shown]
	v_fma_f32 v54, v28, v66, -v11
	v_mul_f32_e32 v11, v43, v73
	v_mul_f32_e32 v51, v34, v63
	v_fmac_f32_e32 v44, v27, v58
	v_fma_f32 v48, v35, v58, -v3
	v_fmac_f32_e32 v46, v22, v60
	v_mul_f32_e32 v22, v23, v69
	v_mul_f32_e32 v60, v21, v71
	v_fma_f32 v58, v34, v62, -v16
	v_fma_f32 v34, v45, v72, -v11
	v_mul_f32_e32 v11, v30, v75
	v_fmac_f32_e32 v49, v24, v53
	v_mul_f32_e32 v35, v33, v69
	v_mul_f32_e32 v3, v29, v71
	v_fmac_f32_e32 v51, v26, v62
	v_fma_f32 v56, v33, v68, -v22
	v_fma_f32 v33, v29, v70, -v60
	v_mul_f32_e32 v26, v6, v75
	v_fma_f32 v29, v6, v74, -v11
	v_mul_f32_e32 v6, v31, v77
	v_mul_f32_e32 v53, v17, v65
	;; [unrolled: 1-line block ×3, first 2 shown]
	v_fmac_f32_e32 v26, v30, v74
	v_mul_f32_e32 v28, v7, v77
	v_fma_f32 v30, v7, v76, -v6
	v_add_f32_e32 v7, v47, v49
	v_fmac_f32_e32 v53, v25, v64
	v_fma_f32 v7, -0.5, v7, v12
	v_mul_f32_e32 v24, v25, v65
	v_add_f32_e32 v6, v12, v47
	v_sub_f32_e32 v11, v55, v57
	v_mov_b32_e32 v12, v7
	v_add_f32_e32 v16, v51, v53
	v_fma_f32 v59, v17, v64, -v24
	v_fmac_f32_e32 v32, v20, v66
	v_fmac_f32_e32 v12, 0xbf5db3d7, v11
	;; [unrolled: 1-line block ×3, first 2 shown]
	v_add_f32_e32 v11, v13, v51
	v_fmac_f32_e32 v13, -0.5, v16
	v_add_f32_e32 v20, v44, v46
	v_sub_f32_e32 v16, v58, v59
	v_mov_b32_e32 v17, v13
	v_fma_f32 v20, -0.5, v20, v0
	v_fmac_f32_e32 v3, v21, v70
	v_fmac_f32_e32 v17, 0xbf5db3d7, v16
	;; [unrolled: 1-line block ×3, first 2 shown]
	v_add_f32_e32 v16, v0, v44
	v_sub_f32_e32 v0, v48, v52
	v_mov_b32_e32 v21, v20
	v_fmac_f32_e32 v35, v23, v68
	v_fmac_f32_e32 v21, 0xbf5db3d7, v0
	;; [unrolled: 1-line block ×3, first 2 shown]
	v_add_f32_e32 v0, v1, v32
	v_add_f32_e32 v22, v0, v35
	;; [unrolled: 1-line block ×3, first 2 shown]
	v_fmac_f32_e32 v1, -0.5, v0
	v_mul_f32_e32 v27, v45, v73
	v_sub_f32_e32 v0, v54, v56
	v_mov_b32_e32 v23, v1
	v_fmac_f32_e32 v27, v43, v72
	v_add_f32_e32 v6, v6, v49
	v_fmac_f32_e32 v23, 0xbf5db3d7, v0
	v_fmac_f32_e32 v1, 0x3f5db3d7, v0
	v_add_f32_e32 v0, v10, v3
	v_add_f32_e32 v24, v0, v27
	;; [unrolled: 1-line block ×3, first 2 shown]
	ds_write2_b32 v40, v6, v12 offset1:160
	ds_write_b32 v40, v7 offset:1280
	v_mov_b32_e32 v6, 0x780
	v_fmac_f32_e32 v28, v31, v76
	v_fmac_f32_e32 v10, -0.5, v0
	v_cndmask_b32_e64 v6, 0, v6, s[2:3]
	v_lshlrev_b32_e32 v7, 2, v78
	v_lshl_add_u32 v61, v50, 2, 0
	v_add_f32_e32 v11, v11, v53
	v_add_f32_e32 v16, v16, v46
	v_sub_f32_e32 v0, v33, v34
	v_mov_b32_e32 v25, v10
	v_add_f32_e32 v31, v26, v28
	v_add3_u32 v60, 0, v6, v7
	v_add_u32_e32 v6, 0x700, v61
	v_fmac_f32_e32 v25, 0xbf5db3d7, v0
	v_fmac_f32_e32 v10, 0x3f5db3d7, v0
	v_add_f32_e32 v0, v37, v26
	v_fmac_f32_e32 v37, -0.5, v31
	ds_write2_b32 v60, v11, v17 offset1:160
	ds_write_b32 v60, v13 offset:1280
	ds_write2_b32 v6, v16, v21 offset0:52 offset1:212
	ds_write_b32 v61, v20 offset:3280
	v_mul_u32_u24_e32 v6, 0x780, v79
	v_lshlrev_b32_e32 v7, 2, v80
	v_sub_f32_e32 v31, v29, v30
	v_mov_b32_e32 v43, v37
	v_add3_u32 v62, 0, v6, v7
	v_lshl_add_u32 v63, v81, 2, 0
	v_add_f32_e32 v0, v0, v28
	v_fmac_f32_e32 v43, 0xbf5db3d7, v31
	v_fmac_f32_e32 v37, 0x3f5db3d7, v31
	ds_write2_b32 v62, v22, v23 offset1:160
	ds_write_b32 v62, v1 offset:1280
	v_add_u32_e32 v1, 0xe00, v63
	v_lshl_add_u32 v31, v82, 2, 0
	ds_write2_b32 v1, v24, v25 offset0:64 offset1:224
	ds_write_b32 v63, v10 offset:5120
	s_and_saveexec_b64 s[2:3], s[0:1]
	s_cbranch_execz .LBB0_23
; %bb.22:
	v_add_u32_e32 v1, 0xe00, v31
	ds_write2_b32 v1, v0, v43 offset0:64 offset1:224
	ds_write_b32 v31, v37 offset:5120
.LBB0_23:
	s_or_b64 exec, exec, s[2:3]
	v_add_u32_e32 v1, 0x400, v40
	s_waitcnt lgkmcnt(0)
	s_barrier
	ds_read2_b32 v[12:13], v1 offset0:104 offset1:224
	v_add_u32_e32 v1, 0xe00, v40
	ds_read2_b32 v[10:11], v1 offset0:64 offset1:154
	v_add_u32_e32 v1, 0x800, v40
	;; [unrolled: 2-line block ×5, first 2 shown]
	ds_read2_b32 v[6:7], v40 offset1:90
	ds_read2_b32 v[24:25], v1 offset0:110 offset1:200
	ds_read_b32 v45, v40 offset:5280
	s_and_saveexec_b64 s[2:3], s[0:1]
	s_cbranch_execz .LBB0_25
; %bb.24:
	ds_read_b32 v0, v40 offset:1800
	ds_read_b32 v43, v40 offset:3720
	;; [unrolled: 1-line block ×3, first 2 shown]
.LBB0_25:
	s_or_b64 exec, exec, s[2:3]
	v_add_f32_e32 v1, v14, v55
	v_add_f32_e32 v64, v1, v57
	;; [unrolled: 1-line block ×3, first 2 shown]
	v_fma_f32 v14, -0.5, v1, v14
	v_sub_f32_e32 v1, v47, v49
	v_mov_b32_e32 v47, v14
	v_fmac_f32_e32 v47, 0x3f5db3d7, v1
	v_fmac_f32_e32 v14, 0xbf5db3d7, v1
	v_add_f32_e32 v1, v15, v58
	v_add_f32_e32 v49, v1, v59
	;; [unrolled: 1-line block ×3, first 2 shown]
	v_fmac_f32_e32 v15, -0.5, v1
	v_sub_f32_e32 v1, v51, v53
	v_mov_b32_e32 v51, v15
	v_fmac_f32_e32 v51, 0x3f5db3d7, v1
	v_fmac_f32_e32 v15, 0xbf5db3d7, v1
	v_add_f32_e32 v1, v18, v48
	v_add_f32_e32 v53, v1, v52
	;; [unrolled: 1-line block ×3, first 2 shown]
	v_fma_f32 v18, -0.5, v1, v18
	v_sub_f32_e32 v1, v44, v46
	v_mov_b32_e32 v46, v18
	v_fmac_f32_e32 v46, 0x3f5db3d7, v1
	v_fmac_f32_e32 v18, 0xbf5db3d7, v1
	v_add_f32_e32 v1, v19, v54
	v_add_f32_e32 v48, v1, v56
	;; [unrolled: 1-line block ×3, first 2 shown]
	v_fmac_f32_e32 v19, -0.5, v1
	v_sub_f32_e32 v1, v32, v35
	v_mov_b32_e32 v32, v19
	v_fmac_f32_e32 v32, 0x3f5db3d7, v1
	v_fmac_f32_e32 v19, 0xbf5db3d7, v1
	v_add_f32_e32 v1, v2, v33
	v_add_f32_e32 v35, v1, v34
	;; [unrolled: 1-line block ×3, first 2 shown]
	v_fmac_f32_e32 v2, -0.5, v1
	v_sub_f32_e32 v1, v3, v27
	v_mov_b32_e32 v3, v2
	v_add_f32_e32 v27, v29, v30
	v_fmac_f32_e32 v3, 0x3f5db3d7, v1
	v_fmac_f32_e32 v2, 0xbf5db3d7, v1
	v_add_f32_e32 v1, v38, v29
	v_fmac_f32_e32 v38, -0.5, v27
	v_sub_f32_e32 v26, v26, v28
	v_mov_b32_e32 v44, v38
	s_waitcnt lgkmcnt(0)
	s_barrier
	ds_write2_b32 v40, v64, v47 offset1:160
	ds_write_b32 v40, v14 offset:1280
	ds_write2_b32 v60, v49, v51 offset1:160
	ds_write_b32 v60, v15 offset:1280
	v_add_u32_e32 v14, 0x700, v61
	v_add_f32_e32 v1, v1, v30
	v_fmac_f32_e32 v44, 0x3f5db3d7, v26
	v_fmac_f32_e32 v38, 0xbf5db3d7, v26
	ds_write2_b32 v14, v53, v46 offset0:52 offset1:212
	ds_write_b32 v61, v18 offset:3280
	ds_write2_b32 v62, v48, v32 offset1:160
	ds_write_b32 v62, v19 offset:1280
	v_add_u32_e32 v14, 0xe00, v63
	ds_write2_b32 v14, v35, v3 offset0:64 offset1:224
	ds_write_b32 v63, v2 offset:5120
	s_and_saveexec_b64 s[2:3], s[0:1]
	s_cbranch_execz .LBB0_27
; %bb.26:
	v_add_u32_e32 v2, 0xe00, v31
	ds_write2_b32 v2, v1, v44 offset0:64 offset1:224
	ds_write_b32 v31, v38 offset:5120
.LBB0_27:
	s_or_b64 exec, exec, s[2:3]
	v_add_u32_e32 v2, 0x400, v40
	s_waitcnt lgkmcnt(0)
	s_barrier
	ds_read2_b32 v[26:27], v2 offset0:104 offset1:224
	v_add_u32_e32 v2, 0xe00, v40
	ds_read2_b32 v[18:19], v2 offset0:64 offset1:154
	v_add_u32_e32 v2, 0x800, v40
	;; [unrolled: 2-line block ×5, first 2 shown]
	ds_read2_b32 v[14:15], v40 offset1:90
	ds_read2_b32 v[34:35], v2 offset0:110 offset1:200
	ds_read_b32 v46, v40 offset:5280
	s_and_saveexec_b64 s[2:3], s[0:1]
	s_cbranch_execz .LBB0_29
; %bb.28:
	ds_read_b32 v1, v40 offset:1800
	ds_read_b32 v44, v40 offset:3720
	;; [unrolled: 1-line block ×3, first 2 shown]
.LBB0_29:
	s_or_b64 exec, exec, s[2:3]
	s_and_saveexec_b64 s[2:3], vcc
	s_cbranch_execz .LBB0_32
; %bb.30:
	v_lshlrev_b32_e32 v2, 1, v41
	v_mov_b32_e32 v3, 0
	v_lshlrev_b64 v[47:48], 3, v[2:3]
	v_mov_b32_e32 v40, s9
	v_add_co_u32_e32 v47, vcc, s8, v47
	v_addc_co_u32_e32 v48, vcc, v40, v48, vcc
	v_lshlrev_b32_e32 v2, 1, v42
	global_load_dwordx4 v[51:54], v[47:48], off offset:3760
	v_lshlrev_b64 v[47:48], 3, v[2:3]
	v_add_u32_e32 v49, 0xb4, v50
	v_add_co_u32_e32 v47, vcc, s8, v47
	v_addc_co_u32_e32 v48, vcc, v40, v48, vcc
	v_lshlrev_b32_e32 v2, 1, v49
	global_load_dwordx4 v[55:58], v[47:48], off offset:3760
	v_lshlrev_b64 v[47:48], 3, v[2:3]
	v_lshlrev_b32_e32 v2, 1, v36
	v_add_co_u32_e32 v47, vcc, s8, v47
	v_addc_co_u32_e32 v48, vcc, v40, v48, vcc
	global_load_dwordx4 v[59:62], v[47:48], off offset:3760
	v_lshlrev_b64 v[47:48], 3, v[2:3]
	s_mov_b32 s5, 0x88888889
	v_add_co_u32_e32 v47, vcc, s8, v47
	v_addc_co_u32_e32 v48, vcc, v40, v48, vcc
	global_load_dwordx4 v[63:66], v[47:48], off offset:3760
	global_load_dwordx4 v[67:70], v[8:9], off offset:3760
	v_add_co_u32_e32 v4, vcc, s14, v4
	s_movk_i32 s4, 0x3c0
	s_waitcnt vmcnt(4)
	v_mul_f32_e32 v2, v25, v52
	v_mul_f32_e32 v8, v45, v54
	s_waitcnt lgkmcnt(1)
	v_mul_f32_e32 v9, v35, v52
	s_waitcnt lgkmcnt(0)
	v_mul_f32_e32 v40, v46, v54
	v_fma_f32 v2, v35, v51, -v2
	v_fma_f32 v35, v46, v53, -v8
	v_fmac_f32_e32 v9, v25, v51
	v_fmac_f32_e32 v40, v45, v53
	s_waitcnt vmcnt(3)
	v_mul_f32_e32 v8, v24, v56
	v_mul_f32_e32 v25, v23, v58
	;; [unrolled: 1-line block ×4, first 2 shown]
	v_add_f32_e32 v47, v2, v35
	v_add_f32_e32 v51, v9, v40
	v_sub_f32_e32 v52, v2, v35
	v_add_f32_e32 v2, v26, v2
	v_fma_f32 v34, v34, v55, -v8
	v_fma_f32 v33, v33, v57, -v25
	s_waitcnt vmcnt(2)
	v_mul_f32_e32 v25, v17, v60
	v_mul_f32_e32 v54, v22, v62
	v_fmac_f32_e32 v45, v24, v55
	v_fmac_f32_e32 v46, v23, v57
	v_mul_f32_e32 v55, v29, v60
	v_mul_f32_e32 v56, v32, v62
	v_fma_f32 v8, -0.5, v51, v12
	v_add_f32_e32 v24, v2, v35
	v_add_f32_e32 v2, v34, v33
	v_fma_f32 v29, v29, v59, -v25
	v_fma_f32 v51, v32, v61, -v54
	v_add_f32_e32 v53, v12, v9
	v_sub_f32_e32 v12, v45, v46
	v_add_f32_e32 v35, v45, v46
	v_add_f32_e32 v45, v21, v45
	v_fmac_f32_e32 v55, v17, v59
	v_fmac_f32_e32 v56, v22, v61
	v_fma_f32 v22, -0.5, v2, v31
	v_add_f32_e32 v2, v29, v51
	v_sub_f32_e32 v48, v9, v40
	v_add_f32_e32 v23, v53, v40
	v_sub_f32_e32 v40, v34, v33
	v_add_f32_e32 v34, v31, v34
	v_add_f32_e32 v31, v45, v46
	v_fma_f32 v46, -0.5, v2, v30
	v_add_f32_e32 v2, v55, v56
	v_fma_f32 v45, -0.5, v2, v20
	v_fma_f32 v9, -0.5, v47, v26
	v_sub_f32_e32 v2, v29, v51
	v_mov_b32_e32 v47, v45
	v_fmac_f32_e32 v47, 0x3f5db3d7, v2
	v_fmac_f32_e32 v45, 0xbf5db3d7, v2
	v_add_f32_e32 v2, v30, v29
	v_add_f32_e32 v32, v34, v33
	v_mov_b32_e32 v34, v22
	v_add_f32_e32 v30, v2, v51
	v_add_f32_e32 v2, v20, v55
	v_fma_f32 v21, -0.5, v35, v21
	v_fmac_f32_e32 v22, 0x3f5db3d7, v12
	v_fmac_f32_e32 v34, 0xbf5db3d7, v12
	v_add_f32_e32 v29, v2, v56
	s_waitcnt vmcnt(1)
	v_mul_f32_e32 v2, v16, v64
	v_mul_f32_e32 v12, v11, v66
	v_mov_b32_e32 v33, v21
	v_fma_f32 v2, v28, v63, -v2
	v_fma_f32 v20, v19, v65, -v12
	v_mul_f32_e32 v28, v28, v64
	v_mul_f32_e32 v19, v19, v66
	v_fmac_f32_e32 v21, 0xbf5db3d7, v40
	v_fmac_f32_e32 v33, 0x3f5db3d7, v40
	v_add_f32_e32 v12, v2, v20
	v_fmac_f32_e32 v28, v16, v63
	v_fmac_f32_e32 v19, v11, v65
	v_sub_f32_e32 v40, v2, v20
	v_add_f32_e32 v2, v15, v2
	v_add_f32_e32 v11, v28, v19
	;; [unrolled: 1-line block ×4, first 2 shown]
	v_sub_f32_e32 v35, v28, v19
	v_fma_f32 v11, -0.5, v11, v7
	v_add_f32_e32 v19, v2, v19
	s_waitcnt vmcnt(0)
	v_mul_f32_e32 v2, v13, v68
	v_mul_f32_e32 v7, v10, v70
	v_fma_f32 v2, v27, v67, -v2
	v_fma_f32 v7, v18, v69, -v7
	v_fma_f32 v12, -0.5, v12, v15
	v_add_f32_e32 v15, v2, v7
	v_fma_f32 v28, -0.5, v15, v14
	v_mul_f32_e32 v15, v27, v68
	v_mul_f32_e32 v18, v18, v70
	v_mad_u64_u32 v[53:54], s[2:3], s12, v50, 0
	v_fmac_f32_e32 v15, v13, v67
	v_fmac_f32_e32 v18, v10, v69
	v_mov_b32_e32 v25, v8
	v_add_f32_e32 v13, v15, v18
	v_fmac_f32_e32 v8, 0xbf5db3d7, v52
	v_fmac_f32_e32 v25, 0x3f5db3d7, v52
	v_sub_f32_e32 v10, v15, v18
	v_mov_b32_e32 v52, v28
	v_fma_f32 v27, -0.5, v13, v6
	v_fmac_f32_e32 v52, 0xbf5db3d7, v10
	v_sub_f32_e32 v13, v2, v7
	v_mov_b32_e32 v51, v27
	v_fmac_f32_e32 v28, 0x3f5db3d7, v10
	v_add_f32_e32 v10, v14, v2
	v_mov_b32_e32 v2, v54
	v_fmac_f32_e32 v51, 0x3f5db3d7, v13
	v_fmac_f32_e32 v27, 0xbf5db3d7, v13
	v_mad_u64_u32 v[13:14], s[2:3], s13, v50, v[2:3]
	v_add_f32_e32 v7, v10, v7
	v_add_u32_e32 v10, 0x1e0, v50
	v_mov_b32_e32 v54, v13
	v_lshlrev_b64 v[13:14], 3, v[53:54]
	v_mad_u64_u32 v[53:54], s[2:3], s12, v10, 0
	v_add_f32_e32 v2, v6, v15
	v_add_f32_e32 v6, v2, v18
	v_mov_b32_e32 v2, s15
	v_addc_co_u32_e32 v5, vcc, v2, v5, vcc
	v_mov_b32_e32 v2, v54
	v_sub_f32_e32 v17, v55, v56
	v_mad_u64_u32 v[54:55], s[2:3], s13, v10, v[2:3]
	v_add_u32_e32 v10, 0x3c0, v50
	v_mad_u64_u32 v[55:56], s[2:3], s12, v10, 0
	v_add_co_u32_e32 v13, vcc, v4, v13
	v_addc_co_u32_e32 v14, vcc, v5, v14, vcc
	v_mov_b32_e32 v2, v56
	global_store_dwordx2 v[13:14], v[6:7], off
	v_mad_u64_u32 v[13:14], s[2:3], s13, v10, v[2:3]
	v_lshlrev_b64 v[6:7], 3, v[53:54]
	v_add_u32_e32 v10, 0x23a, v50
	v_mov_b32_e32 v56, v13
	v_mad_u64_u32 v[13:14], s[2:3], s12, v36, 0
	v_add_co_u32_e32 v6, vcc, v4, v6
	v_addc_co_u32_e32 v7, vcc, v5, v7, vcc
	global_store_dwordx2 v[6:7], v[27:28], off
	v_mov_b32_e32 v2, v14
	v_mad_u64_u32 v[27:28], s[2:3], s12, v10, 0
	v_lshlrev_b64 v[6:7], 3, v[55:56]
	v_mad_u64_u32 v[14:15], s[2:3], s13, v36, v[2:3]
	v_add_co_u32_e32 v6, vcc, v4, v6
	v_addc_co_u32_e32 v7, vcc, v5, v7, vcc
	v_mov_b32_e32 v2, v28
	global_store_dwordx2 v[6:7], v[51:52], off
	v_lshlrev_b64 v[6:7], 3, v[13:14]
	v_mad_u64_u32 v[13:14], s[2:3], s13, v10, v[2:3]
	v_add_u32_e32 v10, 0x41a, v50
	v_mul_hi_u32 v18, v49, s5
	v_mov_b32_e32 v28, v13
	v_mad_u64_u32 v[13:14], s[2:3], s12, v10, 0
	v_add_co_u32_e32 v6, vcc, v4, v6
	v_mov_b32_e32 v2, v14
	v_mad_u64_u32 v[14:15], s[2:3], s13, v10, v[2:3]
	v_lshrrev_b32_e32 v2, 8, v18
	v_addc_co_u32_e32 v7, vcc, v5, v7, vcc
	v_mad_u32_u24 v15, v2, s4, v49
	global_store_dwordx2 v[6:7], v[19:20], off
	v_mad_u64_u32 v[18:19], s[2:3], s12, v15, 0
	v_lshlrev_b64 v[6:7], 3, v[27:28]
	v_mov_b32_e32 v26, v9
	v_fmac_f32_e32 v9, 0x3f5db3d7, v48
	v_fmac_f32_e32 v26, 0xbf5db3d7, v48
	v_mov_b32_e32 v48, v46
	v_add_co_u32_e32 v6, vcc, v4, v6
	v_fmac_f32_e32 v48, 0xbf5db3d7, v17
	v_fmac_f32_e32 v46, 0x3f5db3d7, v17
	v_mov_b32_e32 v17, v12
	v_mov_b32_e32 v16, v11
	v_fmac_f32_e32 v12, 0x3f5db3d7, v35
	v_fmac_f32_e32 v11, 0xbf5db3d7, v40
	v_addc_co_u32_e32 v7, vcc, v5, v7, vcc
	v_mov_b32_e32 v2, v19
	global_store_dwordx2 v[6:7], v[11:12], off
	v_mad_u64_u32 v[10:11], s[2:3], s13, v15, v[2:3]
	v_add_u32_e32 v12, 0x1e0, v15
	v_lshlrev_b64 v[6:7], 3, v[13:14]
	v_mov_b32_e32 v19, v10
	v_mad_u64_u32 v[10:11], s[2:3], s12, v12, 0
	v_add_co_u32_e32 v6, vcc, v4, v6
	v_mov_b32_e32 v2, v11
	v_mad_u64_u32 v[11:12], s[2:3], s13, v12, v[2:3]
	v_add_u32_e32 v14, 0x3c0, v15
	v_fmac_f32_e32 v17, 0xbf5db3d7, v35
	v_fmac_f32_e32 v16, 0x3f5db3d7, v40
	v_addc_co_u32_e32 v7, vcc, v5, v7, vcc
	v_mad_u64_u32 v[12:13], s[2:3], s12, v14, 0
	global_store_dwordx2 v[6:7], v[16:17], off
	v_lshlrev_b64 v[6:7], 3, v[18:19]
	v_mov_b32_e32 v2, v13
	v_add_co_u32_e32 v6, vcc, v4, v6
	v_addc_co_u32_e32 v7, vcc, v5, v7, vcc
	global_store_dwordx2 v[6:7], v[29:30], off
	v_lshlrev_b64 v[6:7], 3, v[10:11]
	v_mad_u64_u32 v[10:11], s[2:3], s13, v14, v[2:3]
	v_mul_hi_u32 v2, v42, s5
	v_add_co_u32_e32 v6, vcc, v4, v6
	v_mov_b32_e32 v13, v10
	v_lshrrev_b32_e32 v2, 8, v2
	v_mad_u32_u24 v14, v2, s4, v42
	v_mad_u64_u32 v[10:11], s[2:3], s12, v14, 0
	v_addc_co_u32_e32 v7, vcc, v5, v7, vcc
	v_mov_b32_e32 v2, v11
	global_store_dwordx2 v[6:7], v[45:46], off
	v_lshlrev_b64 v[6:7], 3, v[12:13]
	v_mad_u64_u32 v[11:12], s[2:3], s13, v14, v[2:3]
	v_add_u32_e32 v15, 0x1e0, v14
	v_mad_u64_u32 v[12:13], s[2:3], s12, v15, 0
	v_add_co_u32_e32 v6, vcc, v4, v6
	v_addc_co_u32_e32 v7, vcc, v5, v7, vcc
	v_mov_b32_e32 v2, v13
	global_store_dwordx2 v[6:7], v[47:48], off
	v_lshlrev_b64 v[6:7], 3, v[10:11]
	v_mad_u64_u32 v[10:11], s[2:3], s13, v15, v[2:3]
	v_add_co_u32_e32 v6, vcc, v4, v6
	v_addc_co_u32_e32 v7, vcc, v5, v7, vcc
	v_mov_b32_e32 v13, v10
	global_store_dwordx2 v[6:7], v[31:32], off
	v_lshlrev_b64 v[6:7], 3, v[12:13]
	v_add_u32_e32 v12, 0x3c0, v14
	v_mad_u64_u32 v[10:11], s[2:3], s12, v12, 0
	v_mul_hi_u32 v13, v41, s5
	v_add_co_u32_e32 v6, vcc, v4, v6
	v_mov_b32_e32 v2, v11
	v_mad_u64_u32 v[11:12], s[2:3], s13, v12, v[2:3]
	v_lshrrev_b32_e32 v2, 8, v13
	v_mad_u32_u24 v14, v2, s4, v41
	v_mad_u64_u32 v[12:13], s[2:3], s12, v14, 0
	v_addc_co_u32_e32 v7, vcc, v5, v7, vcc
	v_mov_b32_e32 v2, v13
	global_store_dwordx2 v[6:7], v[21:22], off
	v_lshlrev_b64 v[6:7], 3, v[10:11]
	v_mad_u64_u32 v[10:11], s[2:3], s13, v14, v[2:3]
	v_add_co_u32_e32 v6, vcc, v4, v6
	v_addc_co_u32_e32 v7, vcc, v5, v7, vcc
	v_mov_b32_e32 v13, v10
	global_store_dwordx2 v[6:7], v[33:34], off
	v_lshlrev_b64 v[6:7], 3, v[12:13]
	v_add_u32_e32 v12, 0x1e0, v14
	v_mad_u64_u32 v[10:11], s[2:3], s12, v12, 0
	v_add_u32_e32 v14, 0x3c0, v14
	v_add_co_u32_e32 v6, vcc, v4, v6
	v_mov_b32_e32 v2, v11
	v_mad_u64_u32 v[11:12], s[2:3], s13, v12, v[2:3]
	v_mad_u64_u32 v[12:13], s[2:3], s12, v14, 0
	v_addc_co_u32_e32 v7, vcc, v5, v7, vcc
	v_mov_b32_e32 v2, v13
	global_store_dwordx2 v[6:7], v[23:24], off
	v_lshlrev_b64 v[6:7], 3, v[10:11]
	v_mad_u64_u32 v[10:11], s[2:3], s13, v14, v[2:3]
	v_add_co_u32_e32 v6, vcc, v4, v6
	v_addc_co_u32_e32 v7, vcc, v5, v7, vcc
	v_mov_b32_e32 v13, v10
	global_store_dwordx2 v[6:7], v[8:9], off
	v_lshlrev_b64 v[6:7], 3, v[12:13]
	v_add_co_u32_e32 v6, vcc, v4, v6
	v_addc_co_u32_e32 v7, vcc, v5, v7, vcc
	global_store_dwordx2 v[6:7], v[25:26], off
	s_and_b64 exec, exec, s[0:1]
	s_cbranch_execz .LBB0_32
; %bb.31:
	v_subrev_u32_e32 v2, 30, v50
	v_cndmask_b32_e64 v2, v2, v39, s[0:1]
	v_lshlrev_b32_e32 v2, 1, v2
	v_lshlrev_b64 v[2:3], 3, v[2:3]
	v_mov_b32_e32 v6, s9
	v_add_co_u32_e32 v2, vcc, s8, v2
	v_addc_co_u32_e32 v3, vcc, v6, v3, vcc
	global_load_dwordx4 v[6:9], v[2:3], off offset:3760
	v_mad_u64_u32 v[2:3], s[0:1], s12, v39, 0
	v_add_u32_e32 v16, 0x3a2, v50
	v_mad_u64_u32 v[10:11], s[0:1], s12, v16, 0
	v_add_u32_e32 v17, 0x582, v50
	v_mad_u64_u32 v[12:13], s[0:1], s12, v17, 0
	v_mad_u64_u32 v[14:15], s[0:1], s13, v39, v[3:4]
	v_mov_b32_e32 v3, v11
	v_mad_u64_u32 v[15:16], s[0:1], s13, v16, v[3:4]
	v_mov_b32_e32 v11, v13
	;; [unrolled: 2-line block ×3, first 2 shown]
	v_lshlrev_b64 v[2:3], 3, v[2:3]
	v_mov_b32_e32 v11, v15
	v_lshlrev_b64 v[10:11], 3, v[10:11]
	v_add_co_u32_e32 v2, vcc, v4, v2
	v_mov_b32_e32 v13, v16
	v_addc_co_u32_e32 v3, vcc, v5, v3, vcc
	v_lshlrev_b64 v[12:13], 3, v[12:13]
	v_add_co_u32_e32 v10, vcc, v4, v10
	v_addc_co_u32_e32 v11, vcc, v5, v11, vcc
	v_add_co_u32_e32 v4, vcc, v4, v12
	v_addc_co_u32_e32 v5, vcc, v5, v13, vcc
	s_waitcnt vmcnt(0)
	v_mul_f32_e32 v12, v44, v7
	v_mul_f32_e32 v7, v43, v7
	;; [unrolled: 1-line block ×4, first 2 shown]
	v_fmac_f32_e32 v12, v43, v6
	v_fma_f32 v6, v44, v6, -v7
	v_fmac_f32_e32 v13, v37, v8
	v_fma_f32 v7, v38, v8, -v9
	v_add_f32_e32 v9, v12, v13
	v_add_f32_e32 v16, v6, v7
	;; [unrolled: 1-line block ×4, first 2 shown]
	v_fmac_f32_e32 v0, -0.5, v9
	v_fmac_f32_e32 v1, -0.5, v16
	v_sub_f32_e32 v14, v6, v7
	v_sub_f32_e32 v12, v12, v13
	v_add_f32_e32 v6, v8, v13
	v_mov_b32_e32 v8, v0
	v_mov_b32_e32 v9, v1
	v_add_f32_e32 v7, v15, v7
	v_fmac_f32_e32 v8, 0xbf5db3d7, v14
	v_fmac_f32_e32 v9, 0x3f5db3d7, v12
	;; [unrolled: 1-line block ×4, first 2 shown]
	global_store_dwordx2 v[2:3], v[6:7], off
	global_store_dwordx2 v[10:11], v[8:9], off
	;; [unrolled: 1-line block ×3, first 2 shown]
.LBB0_32:
	s_endpgm
	.section	.rodata,"a",@progbits
	.p2align	6, 0x0
	.amdhsa_kernel fft_rtc_back_len1440_factors_10_16_3_3_wgs_90_tpt_90_halfLds_sp_ip_CI_sbrr_dirReg
		.amdhsa_group_segment_fixed_size 0
		.amdhsa_private_segment_fixed_size 0
		.amdhsa_kernarg_size 88
		.amdhsa_user_sgpr_count 6
		.amdhsa_user_sgpr_private_segment_buffer 1
		.amdhsa_user_sgpr_dispatch_ptr 0
		.amdhsa_user_sgpr_queue_ptr 0
		.amdhsa_user_sgpr_kernarg_segment_ptr 1
		.amdhsa_user_sgpr_dispatch_id 0
		.amdhsa_user_sgpr_flat_scratch_init 0
		.amdhsa_user_sgpr_private_segment_size 0
		.amdhsa_uses_dynamic_stack 0
		.amdhsa_system_sgpr_private_segment_wavefront_offset 0
		.amdhsa_system_sgpr_workgroup_id_x 1
		.amdhsa_system_sgpr_workgroup_id_y 0
		.amdhsa_system_sgpr_workgroup_id_z 0
		.amdhsa_system_sgpr_workgroup_info 0
		.amdhsa_system_vgpr_workitem_id 0
		.amdhsa_next_free_vgpr 83
		.amdhsa_next_free_sgpr 24
		.amdhsa_reserve_vcc 1
		.amdhsa_reserve_flat_scratch 0
		.amdhsa_float_round_mode_32 0
		.amdhsa_float_round_mode_16_64 0
		.amdhsa_float_denorm_mode_32 3
		.amdhsa_float_denorm_mode_16_64 3
		.amdhsa_dx10_clamp 1
		.amdhsa_ieee_mode 1
		.amdhsa_fp16_overflow 0
		.amdhsa_exception_fp_ieee_invalid_op 0
		.amdhsa_exception_fp_denorm_src 0
		.amdhsa_exception_fp_ieee_div_zero 0
		.amdhsa_exception_fp_ieee_overflow 0
		.amdhsa_exception_fp_ieee_underflow 0
		.amdhsa_exception_fp_ieee_inexact 0
		.amdhsa_exception_int_div_zero 0
	.end_amdhsa_kernel
	.text
.Lfunc_end0:
	.size	fft_rtc_back_len1440_factors_10_16_3_3_wgs_90_tpt_90_halfLds_sp_ip_CI_sbrr_dirReg, .Lfunc_end0-fft_rtc_back_len1440_factors_10_16_3_3_wgs_90_tpt_90_halfLds_sp_ip_CI_sbrr_dirReg
                                        ; -- End function
	.section	.AMDGPU.csdata,"",@progbits
; Kernel info:
; codeLenInByte = 10356
; NumSgprs: 28
; NumVgprs: 83
; ScratchSize: 0
; MemoryBound: 0
; FloatMode: 240
; IeeeMode: 1
; LDSByteSize: 0 bytes/workgroup (compile time only)
; SGPRBlocks: 3
; VGPRBlocks: 20
; NumSGPRsForWavesPerEU: 28
; NumVGPRsForWavesPerEU: 83
; Occupancy: 3
; WaveLimiterHint : 1
; COMPUTE_PGM_RSRC2:SCRATCH_EN: 0
; COMPUTE_PGM_RSRC2:USER_SGPR: 6
; COMPUTE_PGM_RSRC2:TRAP_HANDLER: 0
; COMPUTE_PGM_RSRC2:TGID_X_EN: 1
; COMPUTE_PGM_RSRC2:TGID_Y_EN: 0
; COMPUTE_PGM_RSRC2:TGID_Z_EN: 0
; COMPUTE_PGM_RSRC2:TIDIG_COMP_CNT: 0
	.type	__hip_cuid_f0fd4b5a943cb434,@object ; @__hip_cuid_f0fd4b5a943cb434
	.section	.bss,"aw",@nobits
	.globl	__hip_cuid_f0fd4b5a943cb434
__hip_cuid_f0fd4b5a943cb434:
	.byte	0                               ; 0x0
	.size	__hip_cuid_f0fd4b5a943cb434, 1

	.ident	"AMD clang version 19.0.0git (https://github.com/RadeonOpenCompute/llvm-project roc-6.4.0 25133 c7fe45cf4b819c5991fe208aaa96edf142730f1d)"
	.section	".note.GNU-stack","",@progbits
	.addrsig
	.addrsig_sym __hip_cuid_f0fd4b5a943cb434
	.amdgpu_metadata
---
amdhsa.kernels:
  - .args:
      - .actual_access:  read_only
        .address_space:  global
        .offset:         0
        .size:           8
        .value_kind:     global_buffer
      - .offset:         8
        .size:           8
        .value_kind:     by_value
      - .actual_access:  read_only
        .address_space:  global
        .offset:         16
        .size:           8
        .value_kind:     global_buffer
      - .actual_access:  read_only
        .address_space:  global
        .offset:         24
        .size:           8
        .value_kind:     global_buffer
      - .offset:         32
        .size:           8
        .value_kind:     by_value
      - .actual_access:  read_only
        .address_space:  global
        .offset:         40
        .size:           8
        .value_kind:     global_buffer
      - .actual_access:  read_only
        .address_space:  global
        .offset:         48
        .size:           8
        .value_kind:     global_buffer
      - .offset:         56
        .size:           4
        .value_kind:     by_value
      - .actual_access:  read_only
        .address_space:  global
        .offset:         64
        .size:           8
        .value_kind:     global_buffer
      - .actual_access:  read_only
        .address_space:  global
        .offset:         72
        .size:           8
        .value_kind:     global_buffer
      - .address_space:  global
        .offset:         80
        .size:           8
        .value_kind:     global_buffer
    .group_segment_fixed_size: 0
    .kernarg_segment_align: 8
    .kernarg_segment_size: 88
    .language:       OpenCL C
    .language_version:
      - 2
      - 0
    .max_flat_workgroup_size: 90
    .name:           fft_rtc_back_len1440_factors_10_16_3_3_wgs_90_tpt_90_halfLds_sp_ip_CI_sbrr_dirReg
    .private_segment_fixed_size: 0
    .sgpr_count:     28
    .sgpr_spill_count: 0
    .symbol:         fft_rtc_back_len1440_factors_10_16_3_3_wgs_90_tpt_90_halfLds_sp_ip_CI_sbrr_dirReg.kd
    .uniform_work_group_size: 1
    .uses_dynamic_stack: false
    .vgpr_count:     83
    .vgpr_spill_count: 0
    .wavefront_size: 64
amdhsa.target:   amdgcn-amd-amdhsa--gfx906
amdhsa.version:
  - 1
  - 2
...

	.end_amdgpu_metadata
